;; amdgpu-corpus repo=ROCm/rocFFT kind=compiled arch=gfx1201 opt=O3
	.text
	.amdgcn_target "amdgcn-amd-amdhsa--gfx1201"
	.amdhsa_code_object_version 6
	.protected	fft_rtc_back_len1728_factors_3_6_6_16_wgs_108_tpt_108_halfLds_dp_ip_CI_unitstride_sbrr_C2R_dirReg ; -- Begin function fft_rtc_back_len1728_factors_3_6_6_16_wgs_108_tpt_108_halfLds_dp_ip_CI_unitstride_sbrr_C2R_dirReg
	.globl	fft_rtc_back_len1728_factors_3_6_6_16_wgs_108_tpt_108_halfLds_dp_ip_CI_unitstride_sbrr_C2R_dirReg
	.p2align	8
	.type	fft_rtc_back_len1728_factors_3_6_6_16_wgs_108_tpt_108_halfLds_dp_ip_CI_unitstride_sbrr_C2R_dirReg,@function
fft_rtc_back_len1728_factors_3_6_6_16_wgs_108_tpt_108_halfLds_dp_ip_CI_unitstride_sbrr_C2R_dirReg: ; @fft_rtc_back_len1728_factors_3_6_6_16_wgs_108_tpt_108_halfLds_dp_ip_CI_unitstride_sbrr_C2R_dirReg
; %bb.0:
	s_clause 0x2
	s_load_b128 s[4:7], s[0:1], 0x0
	s_load_b64 s[8:9], s[0:1], 0x50
	s_load_b64 s[10:11], s[0:1], 0x18
	v_mul_u32_u24_e32 v1, 0x25f, v0
	v_mov_b32_e32 v3, 0
	s_delay_alu instid0(VALU_DEP_2) | instskip(NEXT) | instid1(VALU_DEP_1)
	v_lshrrev_b32_e32 v1, 16, v1
	v_add_nc_u32_e32 v5, ttmp9, v1
	v_mov_b32_e32 v1, 0
	v_mov_b32_e32 v2, 0
	;; [unrolled: 1-line block ×3, first 2 shown]
	s_wait_kmcnt 0x0
	v_cmp_lt_u64_e64 s2, s[6:7], 2
	s_delay_alu instid0(VALU_DEP_1)
	s_and_b32 vcc_lo, exec_lo, s2
	s_cbranch_vccnz .LBB0_8
; %bb.1:
	s_load_b64 s[2:3], s[0:1], 0x10
	v_mov_b32_e32 v1, 0
	v_mov_b32_e32 v2, 0
	s_add_nc_u64 s[12:13], s[10:11], 8
	s_mov_b64 s[14:15], 1
	s_wait_kmcnt 0x0
	s_add_nc_u64 s[16:17], s[2:3], 8
	s_mov_b32 s3, 0
.LBB0_2:                                ; =>This Inner Loop Header: Depth=1
	s_load_b64 s[18:19], s[16:17], 0x0
                                        ; implicit-def: $vgpr7_vgpr8
	s_mov_b32 s2, exec_lo
	s_wait_kmcnt 0x0
	v_or_b32_e32 v4, s19, v6
	s_delay_alu instid0(VALU_DEP_1)
	v_cmpx_ne_u64_e32 0, v[3:4]
	s_wait_alu 0xfffe
	s_xor_b32 s20, exec_lo, s2
	s_cbranch_execz .LBB0_4
; %bb.3:                                ;   in Loop: Header=BB0_2 Depth=1
	s_cvt_f32_u32 s2, s18
	s_cvt_f32_u32 s21, s19
	s_sub_nc_u64 s[24:25], 0, s[18:19]
	s_wait_alu 0xfffe
	s_delay_alu instid0(SALU_CYCLE_1) | instskip(SKIP_1) | instid1(SALU_CYCLE_2)
	s_fmamk_f32 s2, s21, 0x4f800000, s2
	s_wait_alu 0xfffe
	v_s_rcp_f32 s2, s2
	s_delay_alu instid0(TRANS32_DEP_1) | instskip(SKIP_1) | instid1(SALU_CYCLE_2)
	s_mul_f32 s2, s2, 0x5f7ffffc
	s_wait_alu 0xfffe
	s_mul_f32 s21, s2, 0x2f800000
	s_wait_alu 0xfffe
	s_delay_alu instid0(SALU_CYCLE_2) | instskip(SKIP_1) | instid1(SALU_CYCLE_2)
	s_trunc_f32 s21, s21
	s_wait_alu 0xfffe
	s_fmamk_f32 s2, s21, 0xcf800000, s2
	s_cvt_u32_f32 s23, s21
	s_wait_alu 0xfffe
	s_delay_alu instid0(SALU_CYCLE_1) | instskip(SKIP_1) | instid1(SALU_CYCLE_2)
	s_cvt_u32_f32 s22, s2
	s_wait_alu 0xfffe
	s_mul_u64 s[26:27], s[24:25], s[22:23]
	s_wait_alu 0xfffe
	s_mul_hi_u32 s29, s22, s27
	s_mul_i32 s28, s22, s27
	s_mul_hi_u32 s2, s22, s26
	s_mul_i32 s30, s23, s26
	s_wait_alu 0xfffe
	s_add_nc_u64 s[28:29], s[2:3], s[28:29]
	s_mul_hi_u32 s21, s23, s26
	s_mul_hi_u32 s31, s23, s27
	s_add_co_u32 s2, s28, s30
	s_wait_alu 0xfffe
	s_add_co_ci_u32 s2, s29, s21
	s_mul_i32 s26, s23, s27
	s_add_co_ci_u32 s27, s31, 0
	s_wait_alu 0xfffe
	s_add_nc_u64 s[26:27], s[2:3], s[26:27]
	s_wait_alu 0xfffe
	v_add_co_u32 v4, s2, s22, s26
	s_delay_alu instid0(VALU_DEP_1) | instskip(SKIP_1) | instid1(VALU_DEP_1)
	s_cmp_lg_u32 s2, 0
	s_add_co_ci_u32 s23, s23, s27
	v_readfirstlane_b32 s22, v4
	s_wait_alu 0xfffe
	s_delay_alu instid0(VALU_DEP_1)
	s_mul_u64 s[24:25], s[24:25], s[22:23]
	s_wait_alu 0xfffe
	s_mul_hi_u32 s27, s22, s25
	s_mul_i32 s26, s22, s25
	s_mul_hi_u32 s2, s22, s24
	s_mul_i32 s28, s23, s24
	s_wait_alu 0xfffe
	s_add_nc_u64 s[26:27], s[2:3], s[26:27]
	s_mul_hi_u32 s21, s23, s24
	s_mul_hi_u32 s22, s23, s25
	s_wait_alu 0xfffe
	s_add_co_u32 s2, s26, s28
	s_add_co_ci_u32 s2, s27, s21
	s_mul_i32 s24, s23, s25
	s_add_co_ci_u32 s25, s22, 0
	s_wait_alu 0xfffe
	s_add_nc_u64 s[24:25], s[2:3], s[24:25]
	s_wait_alu 0xfffe
	v_add_co_u32 v4, s2, v4, s24
	s_delay_alu instid0(VALU_DEP_1) | instskip(SKIP_1) | instid1(VALU_DEP_1)
	s_cmp_lg_u32 s2, 0
	s_add_co_ci_u32 s2, s23, s25
	v_mul_hi_u32 v13, v5, v4
	s_wait_alu 0xfffe
	v_mad_co_u64_u32 v[7:8], null, v5, s2, 0
	v_mad_co_u64_u32 v[9:10], null, v6, v4, 0
	;; [unrolled: 1-line block ×3, first 2 shown]
	s_delay_alu instid0(VALU_DEP_3) | instskip(SKIP_1) | instid1(VALU_DEP_4)
	v_add_co_u32 v4, vcc_lo, v13, v7
	s_wait_alu 0xfffd
	v_add_co_ci_u32_e32 v7, vcc_lo, 0, v8, vcc_lo
	s_delay_alu instid0(VALU_DEP_2) | instskip(SKIP_1) | instid1(VALU_DEP_2)
	v_add_co_u32 v4, vcc_lo, v4, v9
	s_wait_alu 0xfffd
	v_add_co_ci_u32_e32 v4, vcc_lo, v7, v10, vcc_lo
	s_wait_alu 0xfffd
	v_add_co_ci_u32_e32 v7, vcc_lo, 0, v12, vcc_lo
	s_delay_alu instid0(VALU_DEP_2) | instskip(SKIP_1) | instid1(VALU_DEP_2)
	v_add_co_u32 v4, vcc_lo, v4, v11
	s_wait_alu 0xfffd
	v_add_co_ci_u32_e32 v9, vcc_lo, 0, v7, vcc_lo
	s_delay_alu instid0(VALU_DEP_2) | instskip(SKIP_1) | instid1(VALU_DEP_3)
	v_mul_lo_u32 v10, s19, v4
	v_mad_co_u64_u32 v[7:8], null, s18, v4, 0
	v_mul_lo_u32 v11, s18, v9
	s_delay_alu instid0(VALU_DEP_2) | instskip(NEXT) | instid1(VALU_DEP_2)
	v_sub_co_u32 v7, vcc_lo, v5, v7
	v_add3_u32 v8, v8, v11, v10
	s_delay_alu instid0(VALU_DEP_1) | instskip(SKIP_1) | instid1(VALU_DEP_1)
	v_sub_nc_u32_e32 v10, v6, v8
	s_wait_alu 0xfffd
	v_subrev_co_ci_u32_e64 v10, s2, s19, v10, vcc_lo
	v_add_co_u32 v11, s2, v4, 2
	s_wait_alu 0xf1ff
	v_add_co_ci_u32_e64 v12, s2, 0, v9, s2
	v_sub_co_u32 v13, s2, v7, s18
	v_sub_co_ci_u32_e32 v8, vcc_lo, v6, v8, vcc_lo
	s_wait_alu 0xf1ff
	v_subrev_co_ci_u32_e64 v10, s2, 0, v10, s2
	s_delay_alu instid0(VALU_DEP_3) | instskip(NEXT) | instid1(VALU_DEP_3)
	v_cmp_le_u32_e32 vcc_lo, s18, v13
	v_cmp_eq_u32_e64 s2, s19, v8
	s_wait_alu 0xfffd
	v_cndmask_b32_e64 v13, 0, -1, vcc_lo
	v_cmp_le_u32_e32 vcc_lo, s19, v10
	s_wait_alu 0xfffd
	v_cndmask_b32_e64 v14, 0, -1, vcc_lo
	v_cmp_le_u32_e32 vcc_lo, s18, v7
	;; [unrolled: 3-line block ×3, first 2 shown]
	s_wait_alu 0xfffd
	v_cndmask_b32_e64 v15, 0, -1, vcc_lo
	v_cmp_eq_u32_e32 vcc_lo, s19, v10
	s_wait_alu 0xf1ff
	s_delay_alu instid0(VALU_DEP_2)
	v_cndmask_b32_e64 v7, v15, v7, s2
	s_wait_alu 0xfffd
	v_cndmask_b32_e32 v10, v14, v13, vcc_lo
	v_add_co_u32 v13, vcc_lo, v4, 1
	s_wait_alu 0xfffd
	v_add_co_ci_u32_e32 v14, vcc_lo, 0, v9, vcc_lo
	s_delay_alu instid0(VALU_DEP_3) | instskip(SKIP_2) | instid1(VALU_DEP_3)
	v_cmp_ne_u32_e32 vcc_lo, 0, v10
	s_wait_alu 0xfffd
	v_cndmask_b32_e32 v10, v13, v11, vcc_lo
	v_cndmask_b32_e32 v8, v14, v12, vcc_lo
	v_cmp_ne_u32_e32 vcc_lo, 0, v7
	s_wait_alu 0xfffd
	s_delay_alu instid0(VALU_DEP_2)
	v_dual_cndmask_b32 v7, v4, v10 :: v_dual_cndmask_b32 v8, v9, v8
.LBB0_4:                                ;   in Loop: Header=BB0_2 Depth=1
	s_wait_alu 0xfffe
	s_and_not1_saveexec_b32 s2, s20
	s_cbranch_execz .LBB0_6
; %bb.5:                                ;   in Loop: Header=BB0_2 Depth=1
	v_cvt_f32_u32_e32 v4, s18
	s_sub_co_i32 s20, 0, s18
	s_delay_alu instid0(VALU_DEP_1) | instskip(NEXT) | instid1(TRANS32_DEP_1)
	v_rcp_iflag_f32_e32 v4, v4
	v_mul_f32_e32 v4, 0x4f7ffffe, v4
	s_delay_alu instid0(VALU_DEP_1) | instskip(SKIP_1) | instid1(VALU_DEP_1)
	v_cvt_u32_f32_e32 v4, v4
	s_wait_alu 0xfffe
	v_mul_lo_u32 v7, s20, v4
	s_delay_alu instid0(VALU_DEP_1) | instskip(NEXT) | instid1(VALU_DEP_1)
	v_mul_hi_u32 v7, v4, v7
	v_add_nc_u32_e32 v4, v4, v7
	s_delay_alu instid0(VALU_DEP_1) | instskip(NEXT) | instid1(VALU_DEP_1)
	v_mul_hi_u32 v4, v5, v4
	v_mul_lo_u32 v7, v4, s18
	v_add_nc_u32_e32 v8, 1, v4
	s_delay_alu instid0(VALU_DEP_2) | instskip(NEXT) | instid1(VALU_DEP_1)
	v_sub_nc_u32_e32 v7, v5, v7
	v_subrev_nc_u32_e32 v9, s18, v7
	v_cmp_le_u32_e32 vcc_lo, s18, v7
	s_wait_alu 0xfffd
	s_delay_alu instid0(VALU_DEP_2) | instskip(NEXT) | instid1(VALU_DEP_1)
	v_dual_cndmask_b32 v7, v7, v9 :: v_dual_cndmask_b32 v4, v4, v8
	v_cmp_le_u32_e32 vcc_lo, s18, v7
	s_delay_alu instid0(VALU_DEP_2) | instskip(SKIP_1) | instid1(VALU_DEP_1)
	v_add_nc_u32_e32 v8, 1, v4
	s_wait_alu 0xfffd
	v_dual_cndmask_b32 v7, v4, v8 :: v_dual_mov_b32 v8, v3
.LBB0_6:                                ;   in Loop: Header=BB0_2 Depth=1
	s_wait_alu 0xfffe
	s_or_b32 exec_lo, exec_lo, s2
	s_load_b64 s[20:21], s[12:13], 0x0
	s_delay_alu instid0(VALU_DEP_1)
	v_mul_lo_u32 v4, v8, s18
	v_mul_lo_u32 v11, v7, s19
	v_mad_co_u64_u32 v[9:10], null, v7, s18, 0
	s_add_nc_u64 s[14:15], s[14:15], 1
	s_add_nc_u64 s[12:13], s[12:13], 8
	s_wait_alu 0xfffe
	v_cmp_ge_u64_e64 s2, s[14:15], s[6:7]
	s_add_nc_u64 s[16:17], s[16:17], 8
	s_delay_alu instid0(VALU_DEP_2) | instskip(NEXT) | instid1(VALU_DEP_3)
	v_add3_u32 v4, v10, v11, v4
	v_sub_co_u32 v5, vcc_lo, v5, v9
	s_wait_alu 0xfffd
	s_delay_alu instid0(VALU_DEP_2) | instskip(SKIP_3) | instid1(VALU_DEP_2)
	v_sub_co_ci_u32_e32 v4, vcc_lo, v6, v4, vcc_lo
	s_and_b32 vcc_lo, exec_lo, s2
	s_wait_kmcnt 0x0
	v_mul_lo_u32 v6, s21, v5
	v_mul_lo_u32 v4, s20, v4
	v_mad_co_u64_u32 v[1:2], null, s20, v5, v[1:2]
	s_delay_alu instid0(VALU_DEP_1)
	v_add3_u32 v2, v6, v2, v4
	s_wait_alu 0xfffe
	s_cbranch_vccnz .LBB0_9
; %bb.7:                                ;   in Loop: Header=BB0_2 Depth=1
	v_dual_mov_b32 v5, v7 :: v_dual_mov_b32 v6, v8
	s_branch .LBB0_2
.LBB0_8:
	v_dual_mov_b32 v8, v6 :: v_dual_mov_b32 v7, v5
.LBB0_9:
	s_lshl_b64 s[2:3], s[6:7], 3
	v_mul_hi_u32 v5, 0x25ed098, v0
	s_wait_alu 0xfffe
	s_add_nc_u64 s[2:3], s[10:11], s[2:3]
	s_load_b64 s[2:3], s[2:3], 0x0
	s_load_b64 s[0:1], s[0:1], 0x20
	s_wait_kmcnt 0x0
	v_mul_lo_u32 v3, s2, v8
	v_mul_lo_u32 v4, s3, v7
	v_mad_co_u64_u32 v[1:2], null, s2, v7, v[1:2]
	v_cmp_gt_u64_e32 vcc_lo, s[0:1], v[7:8]
	s_delay_alu instid0(VALU_DEP_2) | instskip(SKIP_1) | instid1(VALU_DEP_2)
	v_add3_u32 v2, v4, v2, v3
	v_mul_u32_u24_e32 v3, 0x6c, v5
	v_lshlrev_b64_e32 v[74:75], 4, v[1:2]
	s_delay_alu instid0(VALU_DEP_2)
	v_sub_nc_u32_e32 v72, v0, v3
	s_and_saveexec_b32 s1, vcc_lo
	s_cbranch_execz .LBB0_13
; %bb.10:
	v_mov_b32_e32 v73, 0
	s_delay_alu instid0(VALU_DEP_3) | instskip(SKIP_2) | instid1(VALU_DEP_3)
	v_add_co_u32 v0, s0, s8, v74
	s_wait_alu 0xf1ff
	v_add_co_ci_u32_e64 v1, s0, s9, v75, s0
	v_lshlrev_b64_e32 v[2:3], 4, v[72:73]
	v_lshl_add_u32 v66, v72, 4, 0
	s_mov_b32 s2, exec_lo
	s_delay_alu instid0(VALU_DEP_2) | instskip(SKIP_1) | instid1(VALU_DEP_3)
	v_add_co_u32 v62, s0, v0, v2
	s_wait_alu 0xf1ff
	v_add_co_ci_u32_e64 v63, s0, v1, v3, s0
	s_clause 0xf
	global_load_b128 v[2:5], v[62:63], off
	global_load_b128 v[6:9], v[62:63], off offset:1728
	global_load_b128 v[10:13], v[62:63], off offset:3456
	;; [unrolled: 1-line block ×15, first 2 shown]
	s_wait_loadcnt 0xf
	ds_store_b128 v66, v[2:5]
	s_wait_loadcnt 0xe
	ds_store_b128 v66, v[6:9] offset:1728
	s_wait_loadcnt 0xd
	ds_store_b128 v66, v[10:13] offset:3456
	;; [unrolled: 2-line block ×15, first 2 shown]
	v_cmpx_eq_u32_e32 0x6b, v72
	s_cbranch_execz .LBB0_12
; %bb.11:
	global_load_b128 v[0:3], v[0:1], off offset:27648
	v_mov_b32_e32 v72, 0x6b
	s_wait_loadcnt 0x0
	ds_store_b128 v73, v[0:3] offset:27648
.LBB0_12:
	s_wait_alu 0xfffe
	s_or_b32 exec_lo, exec_lo, s2
.LBB0_13:
	s_wait_alu 0xfffe
	s_or_b32 exec_lo, exec_lo, s1
	v_lshlrev_b32_e32 v0, 4, v72
	global_wb scope:SCOPE_SE
	s_wait_dscnt 0x0
	s_barrier_signal -1
	s_barrier_wait -1
	global_inv scope:SCOPE_SE
	v_add_nc_u32_e32 v76, 0, v0
	v_sub_nc_u32_e32 v10, 0, v0
	s_mov_b32 s1, exec_lo
                                        ; implicit-def: $vgpr4_vgpr5
	ds_load_b64 v[6:7], v76
	ds_load_b64 v[8:9], v10 offset:27648
	s_wait_dscnt 0x0
	v_add_f64_e32 v[0:1], v[6:7], v[8:9]
	v_add_f64_e64 v[2:3], v[6:7], -v[8:9]
	v_cmpx_ne_u32_e32 0, v72
	s_wait_alu 0xfffe
	s_xor_b32 s1, exec_lo, s1
	s_cbranch_execz .LBB0_15
; %bb.14:
	v_mov_b32_e32 v73, 0
	v_add_f64_e32 v[13:14], v[6:7], v[8:9]
	v_add_f64_e64 v[15:16], v[6:7], -v[8:9]
	s_delay_alu instid0(VALU_DEP_3) | instskip(NEXT) | instid1(VALU_DEP_1)
	v_lshlrev_b64_e32 v[0:1], 4, v[72:73]
	v_add_co_u32 v0, s0, s4, v0
	s_wait_alu 0xf1ff
	s_delay_alu instid0(VALU_DEP_2)
	v_add_co_ci_u32_e64 v1, s0, s5, v1, s0
	global_load_b128 v[2:5], v[0:1], off offset:27600
	ds_load_b64 v[0:1], v10 offset:27656
	ds_load_b64 v[11:12], v76 offset:8
	s_wait_dscnt 0x0
	v_add_f64_e32 v[6:7], v[0:1], v[11:12]
	v_add_f64_e64 v[0:1], v[11:12], -v[0:1]
	s_wait_loadcnt 0x0
	v_fma_f64 v[8:9], v[15:16], v[4:5], v[13:14]
	v_fma_f64 v[11:12], -v[15:16], v[4:5], v[13:14]
	s_delay_alu instid0(VALU_DEP_3) | instskip(SKIP_1) | instid1(VALU_DEP_4)
	v_fma_f64 v[13:14], v[6:7], v[4:5], -v[0:1]
	v_fma_f64 v[4:5], v[6:7], v[4:5], v[0:1]
	v_fma_f64 v[0:1], -v[6:7], v[2:3], v[8:9]
	s_delay_alu instid0(VALU_DEP_4) | instskip(NEXT) | instid1(VALU_DEP_4)
	v_fma_f64 v[6:7], v[6:7], v[2:3], v[11:12]
	v_fma_f64 v[8:9], v[15:16], v[2:3], v[13:14]
	s_delay_alu instid0(VALU_DEP_4)
	v_fma_f64 v[2:3], v[15:16], v[2:3], v[4:5]
	v_dual_mov_b32 v4, v72 :: v_dual_mov_b32 v5, v73
	ds_store_b128 v10, v[6:9] offset:27648
.LBB0_15:
	s_wait_alu 0xfffe
	s_and_not1_saveexec_b32 s0, s1
	s_cbranch_execz .LBB0_17
; %bb.16:
	v_mov_b32_e32 v8, 0
	ds_load_b128 v[4:7], v8 offset:13824
	s_wait_dscnt 0x0
	v_add_f64_e32 v[11:12], v[4:5], v[4:5]
	v_mul_f64_e32 v[13:14], -2.0, v[6:7]
	v_mov_b32_e32 v4, 0
	v_mov_b32_e32 v5, 0
	ds_store_b128 v8, v[11:14] offset:13824
.LBB0_17:
	s_wait_alu 0xfffe
	s_or_b32 exec_lo, exec_lo, s0
	v_lshlrev_b64_e32 v[4:5], 4, v[4:5]
	s_add_nc_u64 s[0:1], s[4:5], 0x6bd0
	s_mov_b32 s3, 0x3febb67a
	s_wait_alu 0xfffe
	s_delay_alu instid0(VALU_DEP_1)
	v_add_co_u32 v23, s0, s0, v4
	s_wait_alu 0xf1ff
	v_add_co_ci_u32_e64 v24, s0, s1, v5, s0
	s_mov_b32 s0, 0xe8584caa
	s_mov_b32 s1, 0xbfebb67a
	s_wait_alu 0xfffe
	s_mov_b32 s2, s0
	s_clause 0x1
	global_load_b128 v[4:7], v[23:24], off offset:1728
	global_load_b128 v[11:14], v[23:24], off offset:3456
	ds_store_b128 v76, v[0:3]
	ds_load_b128 v[0:3], v76 offset:1728
	ds_load_b128 v[15:18], v10 offset:25920
	global_load_b128 v[19:22], v[23:24], off offset:5184
	s_wait_dscnt 0x0
	v_add_f64_e32 v[8:9], v[0:1], v[15:16]
	v_add_f64_e32 v[25:26], v[17:18], v[2:3]
	v_add_f64_e64 v[15:16], v[0:1], -v[15:16]
	v_add_f64_e64 v[0:1], v[2:3], -v[17:18]
	s_wait_loadcnt 0x2
	s_delay_alu instid0(VALU_DEP_2) | instskip(NEXT) | instid1(VALU_DEP_2)
	v_fma_f64 v[2:3], v[15:16], v[6:7], v[8:9]
	v_fma_f64 v[17:18], v[25:26], v[6:7], v[0:1]
	v_fma_f64 v[8:9], -v[15:16], v[6:7], v[8:9]
	v_fma_f64 v[27:28], v[25:26], v[6:7], -v[0:1]
	s_delay_alu instid0(VALU_DEP_4) | instskip(NEXT) | instid1(VALU_DEP_4)
	v_fma_f64 v[0:1], -v[25:26], v[4:5], v[2:3]
	v_fma_f64 v[2:3], v[15:16], v[4:5], v[17:18]
	s_delay_alu instid0(VALU_DEP_4) | instskip(NEXT) | instid1(VALU_DEP_4)
	v_fma_f64 v[6:7], v[25:26], v[4:5], v[8:9]
	v_fma_f64 v[8:9], v[15:16], v[4:5], v[27:28]
	ds_store_b128 v76, v[0:3] offset:1728
	ds_store_b128 v10, v[6:9] offset:25920
	ds_load_b128 v[0:3], v76 offset:3456
	ds_load_b128 v[4:7], v10 offset:24192
	global_load_b128 v[15:18], v[23:24], off offset:6912
	s_wait_dscnt 0x0
	v_add_f64_e32 v[8:9], v[0:1], v[4:5]
	v_add_f64_e32 v[25:26], v[6:7], v[2:3]
	v_add_f64_e64 v[27:28], v[0:1], -v[4:5]
	v_add_f64_e64 v[0:1], v[2:3], -v[6:7]
	s_wait_loadcnt 0x2
	s_delay_alu instid0(VALU_DEP_2) | instskip(NEXT) | instid1(VALU_DEP_2)
	v_fma_f64 v[2:3], v[27:28], v[13:14], v[8:9]
	v_fma_f64 v[4:5], v[25:26], v[13:14], v[0:1]
	v_fma_f64 v[6:7], -v[27:28], v[13:14], v[8:9]
	v_fma_f64 v[8:9], v[25:26], v[13:14], -v[0:1]
	s_delay_alu instid0(VALU_DEP_4) | instskip(NEXT) | instid1(VALU_DEP_4)
	v_fma_f64 v[0:1], -v[25:26], v[11:12], v[2:3]
	v_fma_f64 v[2:3], v[27:28], v[11:12], v[4:5]
	s_delay_alu instid0(VALU_DEP_4) | instskip(NEXT) | instid1(VALU_DEP_4)
	v_fma_f64 v[4:5], v[25:26], v[11:12], v[6:7]
	v_fma_f64 v[6:7], v[27:28], v[11:12], v[8:9]
	ds_store_b128 v76, v[0:3] offset:3456
	ds_store_b128 v10, v[4:7] offset:24192
	;; [unrolled: 22-line block ×5, first 2 shown]
	ds_load_b128 v[0:3], v76 offset:10368
	ds_load_b128 v[4:7], v10 offset:17280
	s_wait_dscnt 0x0
	v_add_f64_e32 v[8:9], v[0:1], v[4:5]
	v_add_f64_e32 v[11:12], v[6:7], v[2:3]
	v_add_f64_e64 v[13:14], v[0:1], -v[4:5]
	v_add_f64_e64 v[0:1], v[2:3], -v[6:7]
	s_wait_loadcnt 0x1
	s_delay_alu instid0(VALU_DEP_2) | instskip(NEXT) | instid1(VALU_DEP_2)
	v_fma_f64 v[2:3], v[13:14], v[21:22], v[8:9]
	v_fma_f64 v[4:5], v[11:12], v[21:22], v[0:1]
	v_fma_f64 v[6:7], -v[13:14], v[21:22], v[8:9]
	v_fma_f64 v[8:9], v[11:12], v[21:22], -v[0:1]
	s_delay_alu instid0(VALU_DEP_4) | instskip(NEXT) | instid1(VALU_DEP_4)
	v_fma_f64 v[0:1], -v[11:12], v[19:20], v[2:3]
	v_fma_f64 v[2:3], v[13:14], v[19:20], v[4:5]
	s_delay_alu instid0(VALU_DEP_4) | instskip(NEXT) | instid1(VALU_DEP_4)
	v_fma_f64 v[4:5], v[11:12], v[19:20], v[6:7]
	v_fma_f64 v[6:7], v[13:14], v[19:20], v[8:9]
	ds_store_b128 v76, v[0:3] offset:10368
	ds_store_b128 v10, v[4:7] offset:17280
	ds_load_b128 v[0:3], v76 offset:12096
	ds_load_b128 v[4:7], v10 offset:15552
	s_wait_dscnt 0x0
	v_add_f64_e32 v[8:9], v[0:1], v[4:5]
	v_add_f64_e32 v[11:12], v[6:7], v[2:3]
	v_add_f64_e64 v[13:14], v[0:1], -v[4:5]
	v_add_f64_e64 v[0:1], v[2:3], -v[6:7]
	s_wait_loadcnt 0x0
	s_delay_alu instid0(VALU_DEP_2) | instskip(NEXT) | instid1(VALU_DEP_2)
	v_fma_f64 v[2:3], v[13:14], v[17:18], v[8:9]
	v_fma_f64 v[4:5], v[11:12], v[17:18], v[0:1]
	v_fma_f64 v[6:7], -v[13:14], v[17:18], v[8:9]
	v_fma_f64 v[8:9], v[11:12], v[17:18], -v[0:1]
	s_delay_alu instid0(VALU_DEP_4) | instskip(NEXT) | instid1(VALU_DEP_4)
	v_fma_f64 v[0:1], -v[11:12], v[15:16], v[2:3]
	v_fma_f64 v[2:3], v[13:14], v[15:16], v[4:5]
	s_delay_alu instid0(VALU_DEP_4) | instskip(NEXT) | instid1(VALU_DEP_4)
	v_fma_f64 v[4:5], v[11:12], v[15:16], v[6:7]
	v_fma_f64 v[6:7], v[13:14], v[15:16], v[8:9]
	ds_store_b128 v76, v[0:3] offset:12096
	ds_store_b128 v10, v[4:7] offset:15552
	global_wb scope:SCOPE_SE
	s_wait_dscnt 0x0
	s_barrier_signal -1
	s_barrier_wait -1
	global_inv scope:SCOPE_SE
	global_wb scope:SCOPE_SE
	s_barrier_signal -1
	s_barrier_wait -1
	global_inv scope:SCOPE_SE
	ds_load_b128 v[0:3], v76 offset:18432
	ds_load_b128 v[4:7], v76 offset:9216
	;; [unrolled: 1-line block ×12, first 2 shown]
	ds_load_b128 v[48:51], v76
	ds_load_b128 v[52:55], v76 offset:1728
	ds_load_b128 v[56:59], v76 offset:3456
	;; [unrolled: 1-line block ×5, first 2 shown]
	global_wb scope:SCOPE_SE
	s_wait_dscnt 0x0
	s_barrier_signal -1
	s_barrier_wait -1
	global_inv scope:SCOPE_SE
	v_add_f64_e32 v[77:78], v[4:5], v[0:1]
	v_add_f64_e32 v[79:80], v[6:7], v[2:3]
	;; [unrolled: 1-line block ×16, first 2 shown]
	v_add_f64_e64 v[6:7], v[6:7], -v[2:3]
	v_add_f64_e64 v[4:5], v[4:5], -v[0:1]
	v_add_f64_e32 v[113:114], v[60:61], v[24:25]
	v_add_f64_e32 v[115:116], v[62:63], v[26:27]
	;; [unrolled: 1-line block ×6, first 2 shown]
	v_add_f64_e64 v[10:11], v[10:11], -v[14:15]
	v_add_f64_e64 v[8:9], v[8:9], -v[12:13]
	;; [unrolled: 1-line block ×6, first 2 shown]
	v_add_f64_e32 v[109:110], v[56:57], v[20:21]
	v_add_f64_e32 v[111:112], v[58:59], v[22:23]
	v_fma_f64 v[48:49], v[77:78], -0.5, v[48:49]
	v_fma_f64 v[50:51], v[79:80], -0.5, v[50:51]
	;; [unrolled: 1-line block ×3, first 2 shown]
	v_add_f64_e64 v[77:78], v[22:23], -v[18:19]
	v_fma_f64 v[54:55], v[83:84], -0.5, v[54:55]
	v_add_f64_e64 v[79:80], v[20:21], -v[16:17]
	v_fma_f64 v[81:82], v[85:86], -0.5, v[56:57]
	v_fma_f64 v[83:84], v[87:88], -0.5, v[58:59]
	;; [unrolled: 1-line block ×3, first 2 shown]
	v_add_f64_e64 v[87:88], v[38:39], -v[34:35]
	v_fma_f64 v[89:90], v[91:92], -0.5, v[62:63]
	v_add_f64_e64 v[91:92], v[36:37], -v[32:33]
	v_fma_f64 v[93:94], v[93:94], -0.5, v[64:65]
	v_fma_f64 v[95:96], v[95:96], -0.5, v[66:67]
	;; [unrolled: 1-line block ×4, first 2 shown]
	v_add_f64_e32 v[36:37], v[101:102], v[0:1]
	v_add_f64_e32 v[38:39], v[103:104], v[2:3]
	;; [unrolled: 1-line block ×10, first 2 shown]
	v_lshl_add_u32 v12, v72, 5, v76
	v_add_f64_e32 v[13:14], v[109:110], v[16:17]
	v_add_f64_e32 v[15:16], v[111:112], v[18:19]
	s_delay_alu instid0(VALU_DEP_3)
	v_add_nc_u32_e32 v17, 0x5108, v12
	v_add_nc_u32_e32 v18, 0x5118, v12
	v_fma_f64 v[32:33], v[6:7], s[0:1], v[48:49]
	s_wait_alu 0xfffe
	v_fma_f64 v[44:45], v[6:7], s[2:3], v[48:49]
	v_fma_f64 v[34:35], v[4:5], s[2:3], v[50:51]
	;; [unrolled: 1-line block ×23, first 2 shown]
	v_cmp_gt_u32_e64 s0, 36, v72
	ds_store_b64 v12, v[0:1] offset:20736
	ds_store_b128 v12, v[36:39]
	ds_store_b128 v12, v[32:35] offset:16
	ds_store_b128 v12, v[44:47] offset:32
	ds_store_b128 v12, v[40:43] offset:5184
	ds_store_b128 v12, v[48:51] offset:5200
	ds_store_b128 v12, v[52:55] offset:5216
	ds_store_b128 v12, v[13:16] offset:10368
	ds_store_b128 v12, v[56:59] offset:10384
	ds_store_b128 v12, v[60:63] offset:10400
	ds_store_b128 v12, v[28:31] offset:15552
	ds_store_b128 v12, v[64:67] offset:15568
	ds_store_b128 v12, v[77:80] offset:15584
	ds_store_2addr_b64 v17, v[2:3], v[68:69] offset1:1
	ds_store_2addr_b64 v18, v[70:71], v[4:5] offset1:1
	ds_store_b64 v12, v[6:7] offset:20776
	s_and_saveexec_b32 s1, s0
	s_cbranch_execz .LBB0_19
; %bb.18:
	ds_store_b128 v12, v[20:23] offset:25920
	ds_store_b128 v12, v[8:11] offset:25936
	;; [unrolled: 1-line block ×3, first 2 shown]
.LBB0_19:
	s_wait_alu 0xfffe
	s_or_b32 exec_lo, exec_lo, s1
	global_wb scope:SCOPE_SE
	s_wait_dscnt 0x0
	s_barrier_signal -1
	s_barrier_wait -1
	global_inv scope:SCOPE_SE
	ds_load_b128 v[16:19], v76
	ds_load_b128 v[12:15], v76 offset:1728
	ds_load_b128 v[64:67], v76 offset:4608
	;; [unrolled: 1-line block ×11, first 2 shown]
	v_cmp_gt_u32_e64 s0, 0x48, v72
	s_delay_alu instid0(VALU_DEP_1)
	s_and_saveexec_b32 s1, s0
	s_cbranch_execz .LBB0_21
; %bb.20:
	ds_load_b128 v[0:3], v76 offset:3456
	ds_load_b128 v[68:71], v76 offset:8064
	;; [unrolled: 1-line block ×6, first 2 shown]
.LBB0_21:
	s_wait_alu 0xfffe
	s_or_b32 exec_lo, exec_lo, s1
	v_and_b32_e32 v78, 0xff, v72
	v_add_nc_u16 v79, v72, 0x6c
	s_mov_b32 s6, 0xe8584caa
	s_mov_b32 s7, 0xbfebb67a
	s_wait_alu 0xfffe
	s_mov_b32 s2, s6
	v_mul_lo_u16 v73, 0xab, v78
	v_and_b32_e32 v80, 0xff, v79
	s_delay_alu instid0(VALU_DEP_2) | instskip(NEXT) | instid1(VALU_DEP_1)
	v_lshrrev_b16 v82, 9, v73
	v_mul_lo_u16 v73, v82, 3
	v_and_b32_e32 v82, 0xffff, v82
	s_delay_alu instid0(VALU_DEP_2) | instskip(NEXT) | instid1(VALU_DEP_2)
	v_sub_nc_u16 v73, v72, v73
	v_mul_u32_u24_e32 v82, 0x120, v82
	s_delay_alu instid0(VALU_DEP_2) | instskip(NEXT) | instid1(VALU_DEP_1)
	v_and_b32_e32 v81, 0xff, v73
	v_mul_u32_u24_e32 v73, 5, v81
	v_lshlrev_b32_e32 v81, 4, v81
	s_delay_alu instid0(VALU_DEP_2) | instskip(NEXT) | instid1(VALU_DEP_2)
	v_lshlrev_b32_e32 v73, 4, v73
	v_add3_u32 v81, 0, v82, v81
	s_clause 0x4
	global_load_b128 v[87:90], v73, s[4:5]
	global_load_b128 v[91:94], v73, s[4:5] offset:16
	global_load_b128 v[95:98], v73, s[4:5] offset:32
	;; [unrolled: 1-line block ×4, first 2 shown]
	v_mul_lo_u16 v73, 0xab, v80
	s_delay_alu instid0(VALU_DEP_1) | instskip(NEXT) | instid1(VALU_DEP_1)
	v_lshrrev_b16 v84, 9, v73
	v_mul_lo_u16 v73, v84, 3
	v_and_b32_e32 v84, 0xffff, v84
	s_delay_alu instid0(VALU_DEP_2) | instskip(NEXT) | instid1(VALU_DEP_2)
	v_sub_nc_u16 v73, v79, v73
	v_mul_u32_u24_e32 v84, 0x120, v84
	s_delay_alu instid0(VALU_DEP_2) | instskip(NEXT) | instid1(VALU_DEP_1)
	v_and_b32_e32 v83, 0xff, v73
	v_mul_u32_u24_e32 v73, 5, v83
	v_lshlrev_b32_e32 v83, 4, v83
	s_delay_alu instid0(VALU_DEP_2) | instskip(SKIP_1) | instid1(VALU_DEP_3)
	v_lshlrev_b32_e32 v133, 4, v73
	v_add_nc_u32_e32 v73, 0xd8, v72
	v_add3_u32 v82, 0, v84, v83
	global_load_b128 v[107:110], v133, s[4:5]
	v_and_b32_e32 v77, 0xffff, v73
	s_clause 0x1
	global_load_b128 v[111:114], v133, s[4:5] offset:32
	global_load_b128 v[115:118], v133, s[4:5] offset:64
	v_mul_u32_u24_e32 v85, 0xaaab, v77
	s_delay_alu instid0(VALU_DEP_1) | instskip(NEXT) | instid1(VALU_DEP_1)
	v_lshrrev_b32_e32 v85, 17, v85
	v_mul_lo_u16 v86, v85, 3
	s_delay_alu instid0(VALU_DEP_1) | instskip(NEXT) | instid1(VALU_DEP_1)
	v_sub_nc_u16 v86, v73, v86
	v_and_b32_e32 v86, 0xffff, v86
	s_delay_alu instid0(VALU_DEP_1) | instskip(NEXT) | instid1(VALU_DEP_1)
	v_mul_u32_u24_e32 v119, 5, v86
	v_lshlrev_b32_e32 v134, 4, v119
	s_clause 0x1
	global_load_b128 v[119:122], v134, s[4:5] offset:32
	global_load_b128 v[123:126], v134, s[4:5] offset:64
	s_wait_loadcnt_dscnt 0x909
	v_mul_f64_e32 v[127:128], v[66:67], v[89:90]
	v_mul_f64_e32 v[89:90], v[64:65], v[89:90]
	s_wait_loadcnt_dscnt 0x807
	v_mul_f64_e32 v[129:130], v[62:63], v[93:94]
	v_mul_f64_e32 v[93:94], v[60:61], v[93:94]
	s_delay_alu instid0(VALU_DEP_4) | instskip(NEXT) | instid1(VALU_DEP_4)
	v_fma_f64 v[127:128], v[64:65], v[87:88], v[127:128]
	v_fma_f64 v[131:132], v[66:67], v[87:88], -v[89:90]
	s_wait_loadcnt_dscnt 0x705
	v_mul_f64_e32 v[87:88], v[58:59], v[97:98]
	v_mul_f64_e32 v[89:90], v[56:57], v[97:98]
	s_wait_loadcnt_dscnt 0x603
	v_mul_f64_e32 v[97:98], v[54:55], v[101:102]
	v_mul_f64_e32 v[101:102], v[52:53], v[101:102]
	v_fma_f64 v[129:130], v[60:61], v[91:92], v[129:130]
	v_fma_f64 v[91:92], v[62:63], v[91:92], -v[93:94]
	s_clause 0x1
	global_load_b128 v[60:63], v134, s[4:5]
	global_load_b128 v[64:67], v133, s[4:5] offset:16
	v_fma_f64 v[93:94], v[56:57], v[95:96], v[87:88]
	v_fma_f64 v[95:96], v[58:59], v[95:96], -v[89:90]
	s_clause 0x1
	global_load_b128 v[56:59], v133, s[4:5] offset:48
	global_load_b128 v[87:90], v134, s[4:5] offset:48
	v_fma_f64 v[97:98], v[52:53], v[99:100], v[97:98]
	v_fma_f64 v[99:100], v[54:55], v[99:100], -v[101:102]
	global_load_b128 v[52:55], v134, s[4:5] offset:16
	s_wait_loadcnt_dscnt 0xa01
	v_mul_f64_e32 v[101:102], v[50:51], v[105:106]
	v_mul_f64_e32 v[105:106], v[48:49], v[105:106]
	s_wait_loadcnt 0x9
	v_mul_f64_e32 v[133:134], v[46:47], v[109:110]
	global_wb scope:SCOPE_SE
	s_wait_loadcnt_dscnt 0x0
	s_barrier_signal -1
	s_barrier_wait -1
	global_inv scope:SCOPE_SE
	v_fma_f64 v[48:49], v[48:49], v[103:104], v[101:102]
	v_mul_f64_e32 v[101:102], v[44:45], v[109:110]
	v_fma_f64 v[50:51], v[50:51], v[103:104], -v[105:106]
	v_mul_f64_e32 v[103:104], v[40:41], v[113:114]
	v_mul_f64_e32 v[105:106], v[36:37], v[117:118]
	v_fma_f64 v[44:45], v[44:45], v[107:108], v[133:134]
	v_mul_f64_e32 v[109:110], v[42:43], v[113:114]
	v_mul_f64_e32 v[113:114], v[38:39], v[117:118]
	;; [unrolled: 1-line block ×3, first 2 shown]
	v_fma_f64 v[46:47], v[46:47], v[107:108], -v[101:102]
	v_mul_f64_e32 v[101:102], v[20:21], v[121:122]
	v_mul_f64_e32 v[107:108], v[24:25], v[125:126]
	v_fma_f64 v[42:43], v[42:43], v[111:112], -v[103:104]
	v_fma_f64 v[38:39], v[38:39], v[115:116], -v[105:106]
	v_mul_f64_e32 v[103:104], v[26:27], v[125:126]
	v_fma_f64 v[40:41], v[40:41], v[111:112], v[109:110]
	v_fma_f64 v[36:37], v[36:37], v[115:116], v[113:114]
	;; [unrolled: 1-line block ×3, first 2 shown]
	v_add_f64_e64 v[117:118], v[93:94], -v[48:49]
	v_add_f64_e32 v[121:122], v[18:19], v[91:92]
	v_fma_f64 v[22:23], v[22:23], v[119:120], -v[101:102]
	v_fma_f64 v[26:27], v[26:27], v[123:124], -v[107:108]
	v_add_f64_e32 v[107:108], v[95:96], v[50:51]
	v_add_f64_e32 v[113:114], v[42:43], v[38:39]
	v_fma_f64 v[24:25], v[24:25], v[123:124], v[103:104]
	v_add_f64_e64 v[123:124], v[129:130], -v[97:98]
	v_add_f64_e32 v[103:104], v[22:23], v[26:27]
	v_fma_f64 v[107:108], v[107:108], -0.5, v[131:132]
	v_mul_f64_e32 v[105:106], v[68:69], v[62:63]
	v_mul_f64_e32 v[101:102], v[30:31], v[66:67]
	;; [unrolled: 1-line block ×10, first 2 shown]
	v_fma_f64 v[70:71], v[70:71], v[60:61], -v[105:106]
	v_add_f64_e32 v[105:106], v[93:94], v[48:49]
	v_fma_f64 v[28:29], v[28:29], v[64:65], v[101:102]
	v_fma_f64 v[30:31], v[30:31], v[64:65], -v[66:67]
	v_fma_f64 v[64:65], v[113:114], -0.5, v[46:47]
	v_fma_f64 v[60:61], v[68:69], v[60:61], v[62:63]
	v_add_f64_e32 v[66:67], v[129:130], v[97:98]
	v_add_f64_e32 v[68:69], v[91:92], v[99:100]
	s_wait_alu 0xfffe
	v_fma_f64 v[101:102], v[117:118], s[2:3], v[107:108]
	v_add_f64_e64 v[91:92], v[91:92], -v[99:100]
	v_add_f64_e32 v[99:100], v[121:122], v[99:100]
	v_fma_f64 v[32:33], v[32:33], v[56:57], v[109:110]
	v_fma_f64 v[34:35], v[34:35], v[56:57], -v[58:59]
	v_add_f64_e32 v[56:57], v[40:41], v[36:37]
	v_add_f64_e64 v[58:59], v[40:41], -v[36:37]
	v_fma_f64 v[8:9], v[8:9], v[87:88], v[111:112]
	v_fma_f64 v[4:5], v[4:5], v[52:53], v[115:116]
	v_fma_f64 v[10:11], v[10:11], v[87:88], -v[89:90]
	v_fma_f64 v[6:7], v[6:7], v[52:53], -v[54:55]
	v_add_f64_e32 v[52:53], v[20:21], v[24:25]
	v_add_f64_e64 v[54:55], v[20:21], -v[24:25]
	v_fma_f64 v[62:63], v[103:104], -0.5, v[70:71]
	v_add_f64_e64 v[87:88], v[95:96], -v[50:51]
	v_fma_f64 v[89:90], v[105:106], -0.5, v[127:128]
	v_fma_f64 v[105:106], v[117:118], s[6:7], v[107:108]
	v_add_f64_e64 v[109:110], v[42:43], -v[38:39]
	v_add_f64_e64 v[117:118], v[22:23], -v[26:27]
	v_add_f64_e32 v[115:116], v[16:17], v[129:130]
	v_add_f64_e32 v[125:126], v[14:15], v[30:31]
	;; [unrolled: 1-line block ×6, first 2 shown]
	v_fma_f64 v[16:17], v[66:67], -0.5, v[16:17]
	v_fma_f64 v[18:19], v[68:69], -0.5, v[18:19]
	v_mul_f64_e32 v[66:67], 0.5, v[101:102]
	v_add_f64_e32 v[103:104], v[28:29], v[32:33]
	v_add_f64_e32 v[107:108], v[30:31], v[34:35]
	v_fma_f64 v[56:57], v[56:57], -0.5, v[44:45]
	v_fma_f64 v[111:112], v[58:59], s[2:3], v[64:65]
	v_fma_f64 v[58:59], v[58:59], s[6:7], v[64:65]
	v_add_f64_e32 v[113:114], v[4:5], v[8:9]
	v_add_f64_e64 v[30:31], v[30:31], -v[34:35]
	v_add_f64_e32 v[64:65], v[6:7], v[10:11]
	v_fma_f64 v[52:53], v[52:53], -0.5, v[60:61]
	v_add_f64_e32 v[44:45], v[2:3], v[6:7]
	v_fma_f64 v[119:120], v[54:55], s[2:3], v[62:63]
	v_fma_f64 v[54:55], v[54:55], s[6:7], v[62:63]
	v_add_f64_e32 v[62:63], v[127:128], v[93:94]
	v_add_f64_e32 v[93:94], v[131:132], v[95:96]
	;; [unrolled: 1-line block ×4, first 2 shown]
	v_add_f64_e64 v[28:29], v[28:29], -v[32:33]
	v_add_f64_e64 v[6:7], v[6:7], -v[10:11]
	;; [unrolled: 1-line block ×3, first 2 shown]
	v_fma_f64 v[46:47], v[87:88], s[6:7], v[89:90]
	v_mul_f64_e32 v[60:61], s[6:7], v[101:102]
	v_fma_f64 v[68:69], v[87:88], s[2:3], v[89:90]
	v_mul_f64_e32 v[70:71], s[6:7], v[105:106]
	v_mul_f64_e32 v[87:88], -0.5, v[105:106]
	v_add_f64_e32 v[97:98], v[115:116], v[97:98]
	v_add_f64_e32 v[20:21], v[20:21], v[24:25]
	;; [unrolled: 1-line block ×5, first 2 shown]
	v_fma_f64 v[12:13], v[103:104], -0.5, v[12:13]
	v_fma_f64 v[14:15], v[107:108], -0.5, v[14:15]
	v_fma_f64 v[89:90], v[109:110], s[6:7], v[56:57]
	v_mul_f64_e32 v[101:102], s[6:7], v[111:112]
	v_mul_f64_e32 v[103:104], 0.5, v[111:112]
	v_fma_f64 v[0:1], v[113:114], -0.5, v[0:1]
	v_fma_f64 v[56:57], v[109:110], s[2:3], v[56:57]
	v_mul_f64_e32 v[105:106], s[6:7], v[58:59]
	v_mul_f64_e32 v[58:59], -0.5, v[58:59]
	v_fma_f64 v[2:3], v[64:65], -0.5, v[2:3]
	v_fma_f64 v[64:65], v[117:118], s[6:7], v[52:53]
	v_mul_f64_e32 v[107:108], s[6:7], v[119:120]
	v_mul_f64_e32 v[109:110], 0.5, v[119:120]
	v_fma_f64 v[52:53], v[117:118], s[2:3], v[52:53]
	v_mul_f64_e32 v[111:112], s[6:7], v[54:55]
	v_mul_f64_e32 v[54:55], -0.5, v[54:55]
	v_add_f64_e32 v[48:49], v[62:63], v[48:49]
	v_add_f64_e32 v[50:51], v[93:94], v[50:51]
	;; [unrolled: 1-line block ×5, first 2 shown]
	v_fma_f64 v[44:45], v[91:92], s[6:7], v[16:17]
	v_fma_f64 v[95:96], v[123:124], s[2:3], v[18:19]
	v_fma_f64 v[60:61], v[46:47], 0.5, v[60:61]
	v_fma_f64 v[46:47], v[46:47], s[2:3], v[66:67]
	v_fma_f64 v[16:17], v[91:92], s[2:3], v[16:17]
	;; [unrolled: 1-line block ×3, first 2 shown]
	v_fma_f64 v[66:67], v[68:69], -0.5, v[70:71]
	v_fma_f64 v[68:69], v[68:69], s[2:3], v[87:88]
	v_add_f64_e32 v[93:94], v[125:126], v[34:35]
	v_fma_f64 v[70:71], v[30:31], s[6:7], v[12:13]
	v_fma_f64 v[87:88], v[28:29], s[2:3], v[14:15]
	;; [unrolled: 1-line block ×3, first 2 shown]
	v_fma_f64 v[91:92], v[89:90], 0.5, v[101:102]
	v_fma_f64 v[89:90], v[89:90], s[2:3], v[103:104]
	v_fma_f64 v[14:15], v[28:29], s[6:7], v[14:15]
	;; [unrolled: 1-line block ×3, first 2 shown]
	v_fma_f64 v[101:102], v[56:57], -0.5, v[105:106]
	v_fma_f64 v[103:104], v[56:57], s[2:3], v[58:59]
	v_fma_f64 v[105:106], v[6:7], s[6:7], v[0:1]
	;; [unrolled: 1-line block ×3, first 2 shown]
	v_fma_f64 v[107:108], v[64:65], 0.5, v[107:108]
	v_fma_f64 v[109:110], v[64:65], s[2:3], v[109:110]
	v_fma_f64 v[117:118], v[4:5], s[6:7], v[2:3]
	v_fma_f64 v[111:112], v[52:53], -0.5, v[111:112]
	v_fma_f64 v[119:120], v[52:53], s[2:3], v[54:55]
	v_add_f64_e32 v[24:25], v[97:98], v[48:49]
	v_add_f64_e32 v[26:27], v[99:100], v[50:51]
	v_add_f64_e64 v[28:29], v[97:98], -v[48:49]
	v_add_f64_e64 v[30:31], v[99:100], -v[50:51]
	v_add_f64_e32 v[0:1], v[8:9], v[20:21]
	v_add_f64_e32 v[2:3], v[10:11], v[22:23]
	v_add_f64_e64 v[8:9], v[8:9], -v[20:21]
	v_add_f64_e64 v[10:11], v[10:11], -v[22:23]
	v_add_f64_e32 v[40:41], v[44:45], v[60:61]
	v_add_f64_e64 v[44:45], v[44:45], -v[60:61]
	v_add_f64_e32 v[42:43], v[95:96], v[46:47]
	v_add_f64_e32 v[48:49], v[16:17], v[66:67]
	;; [unrolled: 1-line block ×3, first 2 shown]
	v_add_f64_e64 v[52:53], v[16:17], -v[66:67]
	v_add_f64_e64 v[54:55], v[18:19], -v[68:69]
	;; [unrolled: 1-line block ×3, first 2 shown]
	v_add_f64_e32 v[32:33], v[62:63], v[36:37]
	v_add_f64_e32 v[34:35], v[93:94], v[38:39]
	v_add_f64_e64 v[36:37], v[62:63], -v[36:37]
	v_add_f64_e64 v[38:39], v[93:94], -v[38:39]
	v_add_f64_e32 v[56:57], v[70:71], v[91:92]
	v_add_f64_e64 v[60:61], v[70:71], -v[91:92]
	v_add_f64_e32 v[58:59], v[87:88], v[89:90]
	;; [unrolled: 2-line block ×3, first 2 shown]
	v_add_f64_e32 v[66:67], v[14:15], v[103:104]
	v_add_f64_e64 v[68:69], v[12:13], -v[101:102]
	v_add_f64_e64 v[70:71], v[14:15], -v[103:104]
	v_add_f64_e32 v[4:5], v[105:106], v[107:108]
	v_add_f64_e32 v[6:7], v[113:114], v[109:110]
	v_add_f64_e64 v[16:17], v[105:106], -v[107:108]
	v_add_f64_e64 v[18:19], v[113:114], -v[109:110]
	v_add_f64_e32 v[12:13], v[115:116], v[111:112]
	v_add_f64_e32 v[14:15], v[117:118], v[119:120]
	v_add_f64_e64 v[20:21], v[115:116], -v[111:112]
	v_add_f64_e64 v[22:23], v[117:118], -v[119:120]
	ds_store_b128 v81, v[24:27]
	ds_store_b128 v81, v[40:43] offset:48
	ds_store_b128 v81, v[48:51] offset:96
	;; [unrolled: 1-line block ×5, first 2 shown]
	ds_store_b128 v82, v[32:35]
	ds_store_b128 v82, v[56:59] offset:48
	ds_store_b128 v82, v[64:67] offset:96
	;; [unrolled: 1-line block ×5, first 2 shown]
	s_and_saveexec_b32 s1, s0
	s_cbranch_execz .LBB0_23
; %bb.22:
	v_mul_lo_u16 v24, v85, 18
	v_lshlrev_b32_e32 v25, 4, v86
	s_delay_alu instid0(VALU_DEP_2) | instskip(NEXT) | instid1(VALU_DEP_1)
	v_and_b32_e32 v24, 0xffff, v24
	v_lshlrev_b32_e32 v24, 4, v24
	s_delay_alu instid0(VALU_DEP_1)
	v_add3_u32 v24, 0, v25, v24
	ds_store_b128 v24, v[0:3]
	ds_store_b128 v24, v[4:7] offset:48
	ds_store_b128 v24, v[12:15] offset:96
	;; [unrolled: 1-line block ×5, first 2 shown]
.LBB0_23:
	s_wait_alu 0xfffe
	s_or_b32 exec_lo, exec_lo, s1
	global_wb scope:SCOPE_SE
	s_wait_dscnt 0x0
	s_barrier_signal -1
	s_barrier_wait -1
	global_inv scope:SCOPE_SE
	ds_load_b128 v[28:31], v76
	ds_load_b128 v[24:27], v76 offset:1728
	ds_load_b128 v[40:43], v76 offset:4608
	;; [unrolled: 1-line block ×11, first 2 shown]
	s_and_saveexec_b32 s1, s0
	s_cbranch_execz .LBB0_25
; %bb.24:
	ds_load_b128 v[0:3], v76 offset:3456
	ds_load_b128 v[4:7], v76 offset:8064
	ds_load_b128 v[12:15], v76 offset:12672
	ds_load_b128 v[8:11], v76 offset:17280
	ds_load_b128 v[16:19], v76 offset:21888
	ds_load_b128 v[20:23], v76 offset:26496
.LBB0_25:
	s_wait_alu 0xfffe
	s_or_b32 exec_lo, exec_lo, s1
	v_mul_lo_u16 v78, v78, 57
	s_mov_b32 s2, 0xe8584caa
	s_mov_b32 s3, 0xbfebb67a
	;; [unrolled: 1-line block ×3, first 2 shown]
	s_wait_alu 0xfffe
	s_mov_b32 s6, s2
	v_lshrrev_b16 v128, 10, v78
	v_mul_lo_u16 v78, v80, 57
	s_delay_alu instid0(VALU_DEP_2) | instskip(NEXT) | instid1(VALU_DEP_2)
	v_mul_lo_u16 v80, v128, 18
	v_lshrrev_b16 v129, 10, v78
	s_delay_alu instid0(VALU_DEP_2) | instskip(NEXT) | instid1(VALU_DEP_2)
	v_sub_nc_u16 v78, v72, v80
	v_mul_lo_u16 v80, v129, 18
	s_delay_alu instid0(VALU_DEP_2) | instskip(NEXT) | instid1(VALU_DEP_2)
	v_and_b32_e32 v130, 0xff, v78
	v_sub_nc_u16 v78, v79, v80
	s_delay_alu instid0(VALU_DEP_2) | instskip(NEXT) | instid1(VALU_DEP_2)
	v_mul_u32_u24_e32 v79, 5, v130
	v_and_b32_e32 v131, 0xff, v78
	s_delay_alu instid0(VALU_DEP_2) | instskip(NEXT) | instid1(VALU_DEP_2)
	v_lshlrev_b32_e32 v106, 4, v79
	v_mul_u32_u24_e32 v86, 5, v131
	s_clause 0x1
	global_load_b128 v[78:81], v106, s[4:5] offset:272
	global_load_b128 v[82:85], v106, s[4:5] offset:304
	v_lshlrev_b32_e32 v114, 4, v86
	s_clause 0x7
	global_load_b128 v[86:89], v114, s[4:5] offset:272
	global_load_b128 v[90:93], v114, s[4:5] offset:304
	;; [unrolled: 1-line block ×8, first 2 shown]
	global_wb scope:SCOPE_SE
	s_wait_loadcnt_dscnt 0x0
	s_barrier_signal -1
	s_barrier_wait -1
	global_inv scope:SCOPE_SE
	v_mul_f64_e32 v[122:123], v[56:57], v[88:89]
	v_mul_f64_e32 v[118:119], v[64:65], v[80:81]
	;; [unrolled: 1-line block ×10, first 2 shown]
	v_fma_f64 v[58:59], v[58:59], v[86:87], -v[122:123]
	v_fma_f64 v[66:67], v[66:67], v[78:79], -v[118:119]
	;; [unrolled: 1-line block ×3, first 2 shown]
	v_mul_f64_e32 v[118:119], v[32:33], v[100:101]
	v_fma_f64 v[62:63], v[62:63], v[90:91], -v[124:125]
	v_mul_f64_e32 v[120:121], v[50:51], v[104:105]
	v_mul_f64_e32 v[104:105], v[48:49], v[104:105]
	;; [unrolled: 1-line block ×4, first 2 shown]
	v_fma_f64 v[64:65], v[64:65], v[78:79], v[80:81]
	v_fma_f64 v[68:69], v[68:69], v[82:83], v[84:85]
	v_fma_f64 v[42:43], v[42:43], v[94:95], -v[126:127]
	v_mul_f64_e32 v[124:125], v[38:39], v[112:113]
	v_mul_f64_e32 v[80:81], v[36:37], v[112:113]
	v_mul_f64_e32 v[82:83], v[46:47], v[116:117]
	v_mul_f64_e32 v[84:85], v[44:45], v[116:117]
	v_mul_f64_e32 v[100:101], v[34:35], v[100:101]
	v_fma_f64 v[56:57], v[56:57], v[86:87], v[88:89]
	v_fma_f64 v[60:61], v[60:61], v[90:91], v[92:93]
	;; [unrolled: 1-line block ×3, first 2 shown]
	v_add_f64_e32 v[78:79], v[66:67], v[70:71]
	v_fma_f64 v[34:35], v[34:35], v[98:99], -v[118:119]
	v_add_f64_e32 v[86:87], v[58:59], v[62:63]
	v_fma_f64 v[48:49], v[48:49], v[102:103], v[120:121]
	v_fma_f64 v[50:51], v[50:51], v[102:103], -v[104:105]
	v_fma_f64 v[52:53], v[52:53], v[106:107], v[122:123]
	v_fma_f64 v[54:55], v[54:55], v[106:107], -v[108:109]
	v_add_f64_e64 v[94:95], v[66:67], -v[70:71]
	v_add_f64_e32 v[88:89], v[64:65], v[68:69]
	v_add_f64_e64 v[90:91], v[64:65], -v[68:69]
	v_fma_f64 v[36:37], v[36:37], v[110:111], v[124:125]
	v_fma_f64 v[38:39], v[38:39], v[110:111], -v[80:81]
	v_fma_f64 v[44:45], v[44:45], v[114:115], v[82:83]
	v_fma_f64 v[46:47], v[46:47], v[114:115], -v[84:85]
	v_fma_f64 v[32:33], v[32:33], v[98:99], v[100:101]
	v_add_f64_e64 v[100:101], v[58:59], -v[62:63]
	v_add_f64_e32 v[80:81], v[56:57], v[60:61]
	v_add_f64_e64 v[82:83], v[56:57], -v[60:61]
	v_fma_f64 v[78:79], v[78:79], -0.5, v[42:43]
	v_add_f64_e32 v[42:43], v[42:43], v[66:67]
	v_fma_f64 v[84:85], v[86:87], -0.5, v[34:35]
	v_add_f64_e32 v[34:35], v[34:35], v[58:59]
	v_add_f64_e32 v[86:87], v[48:49], v[52:53]
	;; [unrolled: 1-line block ×3, first 2 shown]
	v_add_f64_e64 v[104:105], v[50:51], -v[54:55]
	v_fma_f64 v[88:89], v[88:89], -0.5, v[40:41]
	v_add_f64_e32 v[50:51], v[30:31], v[50:51]
	v_add_f64_e32 v[40:41], v[40:41], v[64:65]
	;; [unrolled: 1-line block ×4, first 2 shown]
	v_add_f64_e64 v[66:67], v[38:39], -v[46:47]
	v_add_f64_e32 v[38:39], v[26:27], v[38:39]
	v_fma_f64 v[80:81], v[80:81], -0.5, v[32:33]
	v_add_f64_e32 v[32:33], v[32:33], v[56:57]
	s_wait_alu 0xfffe
	v_fma_f64 v[96:97], v[90:91], s[6:7], v[78:79]
	v_fma_f64 v[78:79], v[90:91], s[2:3], v[78:79]
	v_add_f64_e32 v[90:91], v[36:37], v[44:45]
	v_fma_f64 v[102:103], v[82:83], s[6:7], v[84:85]
	v_fma_f64 v[82:83], v[82:83], s[2:3], v[84:85]
	v_add_f64_e32 v[84:85], v[28:29], v[48:49]
	v_add_f64_e64 v[48:49], v[48:49], -v[52:53]
	v_fma_f64 v[28:29], v[86:87], -0.5, v[28:29]
	v_fma_f64 v[30:31], v[92:93], -0.5, v[30:31]
	v_fma_f64 v[56:57], v[94:95], s[2:3], v[88:89]
	v_fma_f64 v[58:59], v[94:95], s[6:7], v[88:89]
	v_add_f64_e64 v[36:37], v[36:37], -v[44:45]
	v_add_f64_e32 v[50:51], v[50:51], v[54:55]
	v_fma_f64 v[26:27], v[98:99], -0.5, v[26:27]
	v_add_f64_e32 v[40:41], v[40:41], v[68:69]
	v_add_f64_e32 v[42:43], v[42:43], v[70:71]
	;; [unrolled: 1-line block ×6, first 2 shown]
	v_mul_f64_e32 v[86:87], s[2:3], v[96:97]
	v_mul_f64_e32 v[92:93], 0.5, v[96:97]
	v_mul_f64_e32 v[88:89], s[2:3], v[78:79]
	v_mul_f64_e32 v[78:79], -0.5, v[78:79]
	v_fma_f64 v[24:25], v[90:91], -0.5, v[24:25]
	v_fma_f64 v[90:91], v[100:101], s[2:3], v[80:81]
	v_mul_f64_e32 v[94:95], s[2:3], v[102:103]
	v_mul_f64_e32 v[98:99], 0.5, v[102:103]
	v_fma_f64 v[80:81], v[100:101], s[6:7], v[80:81]
	v_mul_f64_e32 v[96:97], s[2:3], v[82:83]
	v_mul_f64_e32 v[82:83], -0.5, v[82:83]
	v_add_f64_e32 v[52:53], v[84:85], v[52:53]
	v_fma_f64 v[60:61], v[104:105], s[2:3], v[28:29]
	v_fma_f64 v[64:65], v[48:49], s[6:7], v[30:31]
	;; [unrolled: 1-line block ×5, first 2 shown]
	v_add_f64_e64 v[30:31], v[50:51], -v[42:43]
	v_add_f64_e32 v[32:33], v[44:45], v[46:47]
	v_add_f64_e32 v[34:35], v[38:39], v[54:55]
	v_add_f64_e64 v[38:39], v[38:39], -v[54:55]
	v_fma_f64 v[48:49], v[56:57], 0.5, v[86:87]
	v_fma_f64 v[56:57], v[56:57], s[6:7], v[92:93]
	v_fma_f64 v[70:71], v[58:59], -0.5, v[88:89]
	v_fma_f64 v[58:59], v[58:59], s[6:7], v[78:79]
	v_fma_f64 v[78:79], v[66:67], s[2:3], v[24:25]
	;; [unrolled: 1-line block ×3, first 2 shown]
	v_fma_f64 v[88:89], v[90:91], 0.5, v[94:95]
	v_fma_f64 v[90:91], v[90:91], s[6:7], v[98:99]
	v_fma_f64 v[86:87], v[36:37], s[2:3], v[26:27]
	v_fma_f64 v[92:93], v[80:81], -0.5, v[96:97]
	v_fma_f64 v[80:81], v[80:81], s[6:7], v[82:83]
	v_add_f64_e32 v[24:25], v[52:53], v[40:41]
	v_add_f64_e32 v[26:27], v[50:51], v[42:43]
	v_add_f64_e64 v[28:29], v[52:53], -v[40:41]
	v_add_f64_e64 v[36:37], v[44:45], -v[46:47]
	v_add_f64_e32 v[40:41], v[60:61], v[48:49]
	v_add_f64_e32 v[42:43], v[64:65], v[56:57]
	;; [unrolled: 1-line block ×4, first 2 shown]
	v_add_f64_e64 v[48:49], v[60:61], -v[48:49]
	v_add_f64_e64 v[50:51], v[64:65], -v[56:57]
	;; [unrolled: 1-line block ×4, first 2 shown]
	v_add_f64_e32 v[56:57], v[78:79], v[88:89]
	v_add_f64_e32 v[58:59], v[84:85], v[90:91]
	;; [unrolled: 1-line block ×4, first 2 shown]
	v_add_f64_e64 v[64:65], v[78:79], -v[88:89]
	v_add_f64_e64 v[68:69], v[66:67], -v[92:93]
	;; [unrolled: 1-line block ×4, first 2 shown]
	v_and_b32_e32 v78, 0xffff, v128
	v_and_b32_e32 v79, 0xffff, v129
	v_lshlrev_b32_e32 v80, 4, v130
	v_lshlrev_b32_e32 v81, 4, v131
	s_delay_alu instid0(VALU_DEP_4) | instskip(NEXT) | instid1(VALU_DEP_4)
	v_mul_u32_u24_e32 v78, 0x6c0, v78
	v_mul_u32_u24_e32 v79, 0x6c0, v79
	s_delay_alu instid0(VALU_DEP_2) | instskip(NEXT) | instid1(VALU_DEP_2)
	v_add3_u32 v78, 0, v78, v80
	v_add3_u32 v79, 0, v79, v81
	ds_store_b128 v78, v[24:27]
	ds_store_b128 v78, v[40:43] offset:288
	ds_store_b128 v78, v[28:31] offset:864
	;; [unrolled: 1-line block ×5, first 2 shown]
	ds_store_b128 v79, v[32:35]
	ds_store_b128 v79, v[56:59] offset:288
	ds_store_b128 v79, v[60:63] offset:576
	;; [unrolled: 1-line block ×5, first 2 shown]
	s_and_saveexec_b32 s1, s0
	s_cbranch_execz .LBB0_27
; %bb.26:
	v_mul_u32_u24_e32 v24, 0xe38f, v77
	s_delay_alu instid0(VALU_DEP_1) | instskip(NEXT) | instid1(VALU_DEP_1)
	v_lshrrev_b32_e32 v50, 20, v24
	v_mul_lo_u16 v24, v50, 18
	s_delay_alu instid0(VALU_DEP_1) | instskip(NEXT) | instid1(VALU_DEP_1)
	v_sub_nc_u16 v24, v73, v24
	v_and_b32_e32 v51, 0xffff, v24
	s_delay_alu instid0(VALU_DEP_1) | instskip(NEXT) | instid1(VALU_DEP_1)
	v_mul_u32_u24_e32 v24, 5, v51
	v_lshlrev_b32_e32 v40, 4, v24
	s_clause 0x4
	global_load_b128 v[24:27], v40, s[4:5] offset:272
	global_load_b128 v[28:31], v40, s[4:5] offset:304
	;; [unrolled: 1-line block ×5, first 2 shown]
	s_wait_loadcnt 0x4
	v_mul_f64_e32 v[44:45], v[8:9], v[26:27]
	s_wait_loadcnt 0x3
	v_mul_f64_e32 v[46:47], v[20:21], v[30:31]
	v_mul_f64_e32 v[26:27], v[10:11], v[26:27]
	;; [unrolled: 1-line block ×3, first 2 shown]
	s_wait_loadcnt 0x2
	v_mul_f64_e32 v[48:49], v[4:5], v[34:35]
	v_mul_f64_e32 v[34:35], v[6:7], v[34:35]
	v_fma_f64 v[10:11], v[10:11], v[24:25], -v[44:45]
	v_fma_f64 v[22:23], v[22:23], v[28:29], -v[46:47]
	s_wait_loadcnt 0x1
	v_mul_f64_e32 v[44:45], v[12:13], v[38:39]
	s_wait_loadcnt 0x0
	v_mul_f64_e32 v[46:47], v[16:17], v[42:43]
	v_mul_f64_e32 v[38:39], v[14:15], v[38:39]
	v_mul_f64_e32 v[42:43], v[18:19], v[42:43]
	v_fma_f64 v[8:9], v[8:9], v[24:25], v[26:27]
	v_fma_f64 v[20:21], v[20:21], v[28:29], v[30:31]
	v_fma_f64 v[6:7], v[6:7], v[32:33], -v[48:49]
	v_fma_f64 v[4:5], v[4:5], v[32:33], v[34:35]
	v_add_f64_e32 v[24:25], v[10:11], v[22:23]
	v_fma_f64 v[14:15], v[14:15], v[36:37], -v[44:45]
	v_fma_f64 v[18:19], v[18:19], v[40:41], -v[46:47]
	v_fma_f64 v[12:13], v[12:13], v[36:37], v[38:39]
	v_fma_f64 v[16:17], v[16:17], v[40:41], v[42:43]
	v_add_f64_e64 v[32:33], v[10:11], -v[22:23]
	v_add_f64_e32 v[26:27], v[8:9], v[20:21]
	v_add_f64_e64 v[28:29], v[8:9], -v[20:21]
	v_fma_f64 v[24:25], v[24:25], -0.5, v[6:7]
	v_add_f64_e32 v[38:39], v[2:3], v[14:15]
	v_add_f64_e32 v[30:31], v[14:15], v[18:19]
	;; [unrolled: 1-line block ×4, first 2 shown]
	v_add_f64_e64 v[10:11], v[14:15], -v[18:19]
	v_fma_f64 v[26:27], v[26:27], -0.5, v[4:5]
	v_add_f64_e32 v[4:5], v[4:5], v[8:9]
	v_fma_f64 v[36:37], v[28:29], s[2:3], v[24:25]
	v_fma_f64 v[24:25], v[28:29], s[6:7], v[24:25]
	v_add_f64_e64 v[28:29], v[12:13], -v[16:17]
	v_add_f64_e32 v[12:13], v[0:1], v[12:13]
	v_fma_f64 v[2:3], v[30:31], -0.5, v[2:3]
	v_fma_f64 v[0:1], v[34:35], -0.5, v[0:1]
	v_fma_f64 v[8:9], v[32:33], s[6:7], v[26:27]
	v_fma_f64 v[26:27], v[32:33], s[2:3], v[26:27]
	v_add_f64_e32 v[18:19], v[38:39], v[18:19]
	v_add_f64_e32 v[6:7], v[6:7], v[22:23]
	;; [unrolled: 1-line block ×3, first 2 shown]
	v_mul_f64_e32 v[14:15], -0.5, v[36:37]
	v_mul_f64_e32 v[30:31], 0.5, v[24:25]
	v_mul_f64_e32 v[24:25], s[2:3], v[24:25]
	v_mul_f64_e32 v[32:33], s[2:3], v[36:37]
	v_add_f64_e32 v[12:13], v[12:13], v[16:17]
	v_fma_f64 v[16:17], v[28:29], s[2:3], v[2:3]
	v_fma_f64 v[20:21], v[28:29], s[6:7], v[2:3]
	;; [unrolled: 1-line block ×4, first 2 shown]
	v_add_f64_e64 v[2:3], v[18:19], -v[6:7]
	v_add_f64_e32 v[6:7], v[18:19], v[6:7]
	v_fma_f64 v[14:15], v[8:9], s[6:7], v[14:15]
	v_fma_f64 v[22:23], v[26:27], s[6:7], v[30:31]
	v_fma_f64 v[24:25], v[26:27], 0.5, v[24:25]
	v_fma_f64 v[8:9], v[8:9], -0.5, v[32:33]
	v_add_f64_e64 v[0:1], v[12:13], -v[4:5]
	v_add_f64_e32 v[4:5], v[12:13], v[4:5]
	v_add_f64_e64 v[10:11], v[16:17], -v[14:15]
	v_add_f64_e32 v[14:15], v[16:17], v[14:15]
	v_add_f64_e32 v[18:19], v[20:21], v[22:23]
	;; [unrolled: 1-line block ×4, first 2 shown]
	v_add_f64_e64 v[22:23], v[20:21], -v[22:23]
	v_add_f64_e64 v[20:21], v[34:35], -v[24:25]
	;; [unrolled: 1-line block ×3, first 2 shown]
	v_mul_lo_u16 v24, 0x6c, v50
	v_lshlrev_b32_e32 v25, 4, v51
	s_delay_alu instid0(VALU_DEP_2) | instskip(NEXT) | instid1(VALU_DEP_1)
	v_and_b32_e32 v24, 0xffff, v24
	v_lshlrev_b32_e32 v24, 4, v24
	s_delay_alu instid0(VALU_DEP_1)
	v_add3_u32 v24, 0, v25, v24
	ds_store_b128 v24, v[4:7]
	ds_store_b128 v24, v[16:19] offset:288
	ds_store_b128 v24, v[12:15] offset:576
	;; [unrolled: 1-line block ×5, first 2 shown]
.LBB0_27:
	s_wait_alu 0xfffe
	s_or_b32 exec_lo, exec_lo, s1
	v_mul_u32_u24_e32 v0, 15, v72
	global_wb scope:SCOPE_SE
	s_wait_dscnt 0x0
	s_barrier_signal -1
	s_barrier_wait -1
	global_inv scope:SCOPE_SE
	v_lshlrev_b32_e32 v56, 4, v0
	s_mov_b32 s0, 0x667f3bcd
	s_mov_b32 s1, 0xbfe6a09e
	;; [unrolled: 1-line block ×3, first 2 shown]
	s_wait_alu 0xfffe
	s_mov_b32 s2, s0
	s_clause 0xe
	global_load_b128 v[0:3], v56, s[4:5] offset:1680
	global_load_b128 v[4:7], v56, s[4:5] offset:1696
	;; [unrolled: 1-line block ×15, first 2 shown]
	ds_load_b128 v[60:63], v76 offset:1728
	ds_load_b128 v[64:67], v76 offset:3456
	;; [unrolled: 1-line block ×5, first 2 shown]
	ds_load_b128 v[85:88], v76
	ds_load_b128 v[89:92], v76 offset:10368
	ds_load_b128 v[93:96], v76 offset:12096
	;; [unrolled: 1-line block ×7, first 2 shown]
	s_mov_b32 s4, 0xcf328d46
	s_mov_b32 s5, 0xbfed906b
	;; [unrolled: 1-line block ×3, first 2 shown]
	s_wait_alu 0xfffe
	s_mov_b32 s12, s4
	s_mov_b32 s6, 0xa6aea964
	;; [unrolled: 1-line block ×4, first 2 shown]
	s_wait_alu 0xfffe
	s_mov_b32 s10, s6
	s_wait_loadcnt_dscnt 0xe0c
	v_mul_f64_e32 v[117:118], v[62:63], v[2:3]
	v_mul_f64_e32 v[2:3], v[60:61], v[2:3]
	s_wait_loadcnt_dscnt 0xd0b
	v_mul_f64_e32 v[119:120], v[66:67], v[6:7]
	v_mul_f64_e32 v[6:7], v[64:65], v[6:7]
	;; [unrolled: 3-line block ×6, first 2 shown]
	v_fma_f64 v[117:118], v[60:61], v[0:1], v[117:118]
	v_fma_f64 v[129:130], v[62:63], v[0:1], -v[2:3]
	ds_load_b128 v[0:3], v76 offset:22464
	ds_load_b128 v[60:63], v76 offset:24192
	v_fma_f64 v[64:65], v[64:65], v[4:5], v[119:120]
	v_fma_f64 v[66:67], v[66:67], v[4:5], -v[6:7]
	ds_load_b128 v[4:7], v76 offset:25920
	s_wait_loadcnt_dscnt 0x808
	v_mul_f64_e32 v[119:120], v[95:96], v[26:27]
	v_mul_f64_e32 v[26:27], v[93:94], v[26:27]
	v_fma_f64 v[68:69], v[68:69], v[8:9], v[121:122]
	v_fma_f64 v[8:9], v[70:71], v[8:9], -v[10:11]
	s_wait_loadcnt_dscnt 0x707
	v_mul_f64_e32 v[10:11], v[99:100], v[30:31]
	v_mul_f64_e32 v[30:31], v[97:98], v[30:31]
	s_wait_loadcnt_dscnt 0x606
	v_mul_f64_e32 v[70:71], v[103:104], v[34:35]
	v_mul_f64_e32 v[34:35], v[101:102], v[34:35]
	v_fma_f64 v[77:78], v[77:78], v[12:13], v[123:124]
	v_fma_f64 v[12:13], v[79:80], v[12:13], -v[14:15]
	s_wait_loadcnt_dscnt 0x505
	v_mul_f64_e32 v[14:15], v[107:108], v[38:39]
	v_mul_f64_e32 v[38:39], v[105:106], v[38:39]
	s_wait_loadcnt_dscnt 0x403
	v_mul_f64_e32 v[79:80], v[115:116], v[42:43]
	v_mul_f64_e32 v[42:43], v[113:114], v[42:43]
	v_fma_f64 v[81:82], v[81:82], v[16:17], v[125:126]
	v_fma_f64 v[16:17], v[83:84], v[16:17], -v[18:19]
	s_wait_loadcnt_dscnt 0x301
	v_mul_f64_e32 v[18:19], v[62:63], v[46:47]
	v_mul_f64_e32 v[46:47], v[60:61], v[46:47]
	s_wait_loadcnt 0x2
	v_mul_f64_e32 v[83:84], v[2:3], v[50:51]
	v_mul_f64_e32 v[50:51], v[0:1], v[50:51]
	v_fma_f64 v[89:90], v[89:90], v[20:21], v[127:128]
	v_fma_f64 v[20:21], v[91:92], v[20:21], -v[22:23]
	s_wait_loadcnt 0x1
	v_mul_f64_e32 v[22:23], v[111:112], v[54:55]
	v_mul_f64_e32 v[54:55], v[109:110], v[54:55]
	s_wait_loadcnt_dscnt 0x0
	v_mul_f64_e32 v[91:92], v[4:5], v[58:59]
	v_mul_f64_e32 v[58:59], v[6:7], v[58:59]
	global_wb scope:SCOPE_SE
	s_barrier_signal -1
	s_barrier_wait -1
	global_inv scope:SCOPE_SE
	v_fma_f64 v[93:94], v[93:94], v[24:25], v[119:120]
	v_fma_f64 v[24:25], v[95:96], v[24:25], -v[26:27]
	v_fma_f64 v[10:11], v[97:98], v[28:29], v[10:11]
	v_fma_f64 v[26:27], v[99:100], v[28:29], -v[30:31]
	;; [unrolled: 2-line block ×8, first 2 shown]
	v_fma_f64 v[6:7], v[6:7], v[56:57], -v[91:92]
	v_fma_f64 v[4:5], v[4:5], v[56:57], v[58:59]
	v_add_f64_e64 v[10:11], v[85:86], -v[10:11]
	v_add_f64_e64 v[26:27], v[87:88], -v[26:27]
	;; [unrolled: 1-line block ×16, first 2 shown]
	v_fma_f64 v[58:59], v[85:86], 2.0, -v[10:11]
	v_fma_f64 v[60:61], v[87:88], 2.0, -v[26:27]
	;; [unrolled: 1-line block ×3, first 2 shown]
	v_add_f64_e64 v[44:45], v[26:27], -v[28:29]
	v_add_f64_e32 v[42:43], v[10:11], v[30:31]
	v_fma_f64 v[28:29], v[77:78], 2.0, -v[28:29]
	v_fma_f64 v[12:13], v[12:13], 2.0, -v[30:31]
	v_add_f64_e64 v[48:49], v[36:37], -v[18:19]
	v_add_f64_e32 v[46:47], v[14:15], v[38:39]
	v_add_f64_e64 v[52:53], v[32:33], -v[0:1]
	v_add_f64_e32 v[50:51], v[40:41], v[2:3]
	v_fma_f64 v[30:31], v[64:65], 2.0, -v[14:15]
	v_fma_f64 v[18:19], v[89:90], 2.0, -v[18:19]
	v_fma_f64 v[20:21], v[20:21], 2.0, -v[38:39]
	v_fma_f64 v[38:39], v[117:118], 2.0, -v[40:41]
	v_add_f64_e32 v[54:55], v[22:23], v[6:7]
	v_add_f64_e64 v[56:57], v[34:35], -v[4:5]
	v_fma_f64 v[64:65], v[129:130], 2.0, -v[32:33]
	v_fma_f64 v[0:1], v[81:82], 2.0, -v[0:1]
	;; [unrolled: 1-line block ×9, first 2 shown]
	v_add_f64_e64 v[28:29], v[58:59], -v[28:29]
	v_add_f64_e64 v[12:13], v[60:61], -v[12:13]
	v_fma_f64 v[26:27], v[36:37], 2.0, -v[48:49]
	v_fma_f64 v[14:15], v[14:15], 2.0, -v[46:47]
	;; [unrolled: 1-line block ×4, first 2 shown]
	v_fma_f64 v[40:41], v[46:47], s[2:3], v[42:43]
	v_add_f64_e64 v[18:19], v[30:31], -v[18:19]
	v_add_f64_e64 v[20:21], v[62:63], -v[20:21]
	v_fma_f64 v[66:67], v[48:49], s[2:3], v[44:45]
	v_fma_f64 v[22:23], v[22:23], 2.0, -v[54:55]
	v_fma_f64 v[34:35], v[34:35], 2.0, -v[56:57]
	v_fma_f64 v[68:69], v[54:55], s[2:3], v[50:51]
	v_add_f64_e64 v[0:1], v[38:39], -v[0:1]
	v_add_f64_e64 v[2:3], v[64:65], -v[2:3]
	v_fma_f64 v[70:71], v[56:57], s[2:3], v[52:53]
	v_add_f64_e64 v[6:7], v[8:9], -v[6:7]
	v_add_f64_e64 v[4:5], v[16:17], -v[4:5]
	v_fma_f64 v[58:59], v[58:59], 2.0, -v[28:29]
	v_fma_f64 v[60:61], v[60:61], 2.0, -v[12:13]
	v_fma_f64 v[79:80], v[26:27], s[0:1], v[24:25]
	v_fma_f64 v[77:78], v[14:15], s[0:1], v[10:11]
	;; [unrolled: 1-line block ×3, first 2 shown]
	v_fma_f64 v[30:31], v[30:31], 2.0, -v[18:19]
	v_fma_f64 v[62:63], v[62:63], 2.0, -v[20:21]
	v_add_f64_e32 v[85:86], v[28:29], v[20:21]
	v_fma_f64 v[81:82], v[22:23], s[0:1], v[36:37]
	v_fma_f64 v[83:84], v[34:35], s[0:1], v[32:33]
	v_add_f64_e64 v[87:88], v[12:13], -v[18:19]
	v_fma_f64 v[46:47], v[46:47], s[0:1], v[66:67]
	v_fma_f64 v[48:49], v[56:57], s[2:3], v[68:69]
	;; [unrolled: 1-line block ×3, first 2 shown]
	v_fma_f64 v[38:39], v[38:39], 2.0, -v[0:1]
	v_add_f64_e32 v[18:19], v[0:1], v[6:7]
	v_add_f64_e64 v[20:21], v[2:3], -v[4:5]
	v_fma_f64 v[64:65], v[64:65], 2.0, -v[2:3]
	v_fma_f64 v[4:5], v[16:17], 2.0, -v[4:5]
	;; [unrolled: 1-line block ×3, first 2 shown]
	v_fma_f64 v[66:67], v[14:15], s[0:1], v[79:80]
	v_fma_f64 v[56:57], v[26:27], s[2:3], v[77:78]
	v_fma_f64 v[79:80], v[42:43], 2.0, -v[40:41]
	v_add_f64_e64 v[68:69], v[58:59], -v[30:31]
	v_add_f64_e64 v[62:63], v[60:61], -v[62:63]
	v_fma_f64 v[70:71], v[28:29], 2.0, -v[85:86]
	v_fma_f64 v[26:27], v[34:35], s[2:3], v[81:82]
	v_fma_f64 v[22:23], v[22:23], s[0:1], v[83:84]
	v_fma_f64 v[77:78], v[12:13], 2.0, -v[87:88]
	v_fma_f64 v[81:82], v[44:45], 2.0, -v[46:47]
	;; [unrolled: 1-line block ×6, first 2 shown]
	v_fma_f64 v[0:1], v[18:19], s[2:3], v[85:86]
	v_add_f64_e64 v[30:31], v[38:39], -v[4:5]
	v_add_f64_e64 v[8:9], v[64:65], -v[6:7]
	v_fma_f64 v[2:3], v[20:21], s[2:3], v[87:88]
	v_fma_f64 v[4:5], v[48:49], s[12:13], v[40:41]
	;; [unrolled: 1-line block ×3, first 2 shown]
	v_fma_f64 v[89:90], v[24:25], 2.0, -v[66:67]
	v_fma_f64 v[83:84], v[10:11], 2.0, -v[56:57]
	;; [unrolled: 1-line block ×6, first 2 shown]
	v_fma_f64 v[50:51], v[26:27], s[6:7], v[56:57]
	v_fma_f64 v[52:53], v[22:23], s[6:7], v[66:67]
	;; [unrolled: 1-line block ×7, first 2 shown]
	v_fma_f64 v[38:39], v[38:39], 2.0, -v[30:31]
	v_fma_f64 v[64:65], v[64:65], 2.0, -v[8:9]
	v_fma_f64 v[2:3], v[18:19], s[0:1], v[2:3]
	v_fma_f64 v[4:5], v[54:55], s[6:7], v[4:5]
	;; [unrolled: 1-line block ×3, first 2 shown]
	v_add_f64_e32 v[8:9], v[68:69], v[8:9]
	v_add_f64_e64 v[10:11], v[62:63], -v[30:31]
	v_fma_f64 v[91:92], v[34:35], s[4:5], v[83:84]
	v_fma_f64 v[93:94], v[32:33], s[4:5], v[89:90]
	;; [unrolled: 1-line block ×8, first 2 shown]
	v_add_f64_e64 v[24:25], v[58:59], -v[38:39]
	v_add_f64_e64 v[26:27], v[60:61], -v[64:65]
	v_fma_f64 v[36:37], v[40:41], 2.0, -v[4:5]
	v_fma_f64 v[38:39], v[46:47], 2.0, -v[6:7]
	;; [unrolled: 1-line block ×4, first 2 shown]
	v_fma_f64 v[28:29], v[32:33], s[6:7], v[91:92]
	v_fma_f64 v[30:31], v[34:35], s[10:11], v[93:94]
	v_fma_f64 v[32:33], v[85:86], 2.0, -v[0:1]
	v_fma_f64 v[34:35], v[87:88], 2.0, -v[2:3]
	;; [unrolled: 1-line block ×12, first 2 shown]
	ds_store_b128 v76, v[0:3] offset:24192
	ds_store_b128 v76, v[4:7] offset:25920
	;; [unrolled: 1-line block ×14, first 2 shown]
	ds_store_b128 v76, v[56:59]
	ds_store_b128 v76, v[60:63] offset:1728
	global_wb scope:SCOPE_SE
	s_wait_dscnt 0x0
	s_barrier_signal -1
	s_barrier_wait -1
	global_inv scope:SCOPE_SE
	s_and_saveexec_b32 s0, vcc_lo
	s_cbranch_execz .LBB0_29
; %bb.28:
	v_lshl_add_u32 v34, v72, 4, 0
	v_dual_mov_b32 v73, 0 :: v_dual_add_nc_u32 v8, 0x6c, v72
	v_add_co_u32 v36, vcc_lo, s8, v74
	ds_load_b128 v[0:3], v34
	ds_load_b128 v[4:7], v34 offset:1728
	v_dual_mov_b32 v9, v73 :: v_dual_add_nc_u32 v12, 0xd8, v72
	v_lshlrev_b64_e32 v[10:11], 4, v[72:73]
	s_wait_alu 0xfffd
	v_add_co_ci_u32_e32 v37, vcc_lo, s9, v75, vcc_lo
	s_delay_alu instid0(VALU_DEP_3) | instskip(SKIP_1) | instid1(VALU_DEP_4)
	v_lshlrev_b64_e32 v[8:9], 4, v[8:9]
	v_dual_mov_b32 v13, v73 :: v_dual_add_nc_u32 v14, 0x144, v72
	v_add_co_u32 v10, vcc_lo, v36, v10
	s_wait_alu 0xfffd
	v_add_co_ci_u32_e32 v11, vcc_lo, v37, v11, vcc_lo
	s_delay_alu instid0(VALU_DEP_4)
	v_add_co_u32 v8, vcc_lo, v36, v8
	s_wait_alu 0xfffd
	v_add_co_ci_u32_e32 v9, vcc_lo, v37, v9, vcc_lo
	v_lshlrev_b64_e32 v[12:13], 4, v[12:13]
	v_mov_b32_e32 v15, v73
	v_dual_mov_b32 v23, v73 :: v_dual_add_nc_u32 v24, 0x288, v72
	s_wait_dscnt 0x1
	global_store_b128 v[10:11], v[0:3], off
	s_wait_dscnt 0x0
	global_store_b128 v[8:9], v[4:7], off
	v_dual_mov_b32 v9, v73 :: v_dual_add_nc_u32 v8, 0x1b0, v72
	v_add_nc_u32_e32 v22, 0x21c, v72
	v_add_co_u32 v16, vcc_lo, v36, v12
	s_wait_alu 0xfffd
	v_add_co_ci_u32_e32 v17, vcc_lo, v37, v13, vcc_lo
	ds_load_b128 v[0:3], v34 offset:3456
	ds_load_b128 v[4:7], v34 offset:5184
	v_lshlrev_b64_e32 v[18:19], 4, v[14:15]
	v_lshlrev_b64_e32 v[20:21], 4, v[8:9]
	ds_load_b128 v[8:11], v34 offset:6912
	ds_load_b128 v[12:15], v34 offset:8640
	v_lshlrev_b64_e32 v[22:23], 4, v[22:23]
	v_mov_b32_e32 v25, v73
	v_add_co_u32 v18, vcc_lo, v36, v18
	s_wait_alu 0xfffd
	v_add_co_ci_u32_e32 v19, vcc_lo, v37, v19, vcc_lo
	v_add_co_u32 v20, vcc_lo, v36, v20
	s_wait_alu 0xfffd
	v_add_co_ci_u32_e32 v21, vcc_lo, v37, v21, vcc_lo
	;; [unrolled: 3-line block ×3, first 2 shown]
	s_wait_dscnt 0x3
	global_store_b128 v[16:17], v[0:3], off
	s_wait_dscnt 0x2
	global_store_b128 v[18:19], v[4:7], off
	;; [unrolled: 2-line block ×4, first 2 shown]
	v_add_nc_u32_e32 v8, 0x2f4, v72
	v_lshlrev_b64_e32 v[0:1], 4, v[24:25]
	v_dual_mov_b32 v9, v73 :: v_dual_add_nc_u32 v10, 0x360, v72
	v_dual_mov_b32 v11, v73 :: v_dual_add_nc_u32 v22, 0x3cc, v72
	;; [unrolled: 1-line block ×3, first 2 shown]
	s_delay_alu instid0(VALU_DEP_4)
	v_add_co_u32 v16, vcc_lo, v36, v0
	s_wait_alu 0xfffd
	v_add_co_ci_u32_e32 v17, vcc_lo, v37, v1, vcc_lo
	ds_load_b128 v[0:3], v34 offset:10368
	ds_load_b128 v[4:7], v34 offset:12096
	v_lshlrev_b64_e32 v[18:19], 4, v[8:9]
	v_lshlrev_b64_e32 v[20:21], 4, v[10:11]
	ds_load_b128 v[8:11], v34 offset:13824
	ds_load_b128 v[12:15], v34 offset:15552
	v_lshlrev_b64_e32 v[22:23], 4, v[22:23]
	v_add_co_u32 v18, vcc_lo, v36, v18
	s_wait_alu 0xfffd
	v_add_co_ci_u32_e32 v19, vcc_lo, v37, v19, vcc_lo
	v_add_co_u32 v20, vcc_lo, v36, v20
	s_wait_alu 0xfffd
	v_add_co_ci_u32_e32 v21, vcc_lo, v37, v21, vcc_lo
	v_add_co_u32 v22, vcc_lo, v36, v22
	s_wait_dscnt 0x3
	global_store_b128 v[16:17], v[0:3], off
	s_wait_dscnt 0x2
	global_store_b128 v[18:19], v[4:7], off
	v_dual_mov_b32 v3, v73 :: v_dual_add_nc_u32 v2, 0x4a4, v72
	s_wait_alu 0xfffd
	v_add_co_ci_u32_e32 v23, vcc_lo, v37, v23, vcc_lo
	v_lshlrev_b64_e32 v[0:1], 4, v[24:25]
	s_wait_dscnt 0x1
	global_store_b128 v[20:21], v[8:11], off
	s_wait_dscnt 0x0
	global_store_b128 v[22:23], v[12:15], off
	v_lshlrev_b64_e32 v[8:9], 4, v[2:3]
	v_dual_mov_b32 v11, v73 :: v_dual_add_nc_u32 v10, 0x510, v72
	v_add_co_u32 v24, vcc_lo, v36, v0
	s_wait_alu 0xfffd
	v_add_co_ci_u32_e32 v25, vcc_lo, v37, v1, vcc_lo
	s_delay_alu instid0(VALU_DEP_4)
	v_add_co_u32 v26, vcc_lo, v36, v8
	s_wait_alu 0xfffd
	v_add_co_ci_u32_e32 v27, vcc_lo, v37, v9, vcc_lo
	v_lshlrev_b64_e32 v[8:9], 4, v[10:11]
	v_dual_mov_b32 v17, v73 :: v_dual_add_nc_u32 v16, 0x57c, v72
	v_dual_mov_b32 v19, v73 :: v_dual_add_nc_u32 v18, 0x5e8, v72
	ds_load_b128 v[0:3], v34 offset:17280
	ds_load_b128 v[4:7], v34 offset:19008
	v_add_co_u32 v28, vcc_lo, v36, v8
	s_wait_alu 0xfffd
	v_add_co_ci_u32_e32 v29, vcc_lo, v37, v9, vcc_lo
	ds_load_b128 v[8:11], v34 offset:20736
	ds_load_b128 v[12:15], v34 offset:22464
	v_lshlrev_b64_e32 v[30:31], 4, v[16:17]
	v_lshlrev_b64_e32 v[32:33], 4, v[18:19]
	ds_load_b128 v[16:19], v34 offset:24192
	ds_load_b128 v[20:23], v34 offset:25920
	v_add_nc_u32_e32 v72, 0x654, v72
	v_add_co_u32 v30, vcc_lo, v36, v30
	s_delay_alu instid0(VALU_DEP_2)
	v_lshlrev_b64_e32 v[34:35], 4, v[72:73]
	s_wait_alu 0xfffd
	v_add_co_ci_u32_e32 v31, vcc_lo, v37, v31, vcc_lo
	v_add_co_u32 v32, vcc_lo, v36, v32
	s_wait_alu 0xfffd
	v_add_co_ci_u32_e32 v33, vcc_lo, v37, v33, vcc_lo
	v_add_co_u32 v34, vcc_lo, v36, v34
	s_wait_alu 0xfffd
	v_add_co_ci_u32_e32 v35, vcc_lo, v37, v35, vcc_lo
	s_wait_dscnt 0x5
	global_store_b128 v[24:25], v[0:3], off
	s_wait_dscnt 0x4
	global_store_b128 v[26:27], v[4:7], off
	;; [unrolled: 2-line block ×6, first 2 shown]
.LBB0_29:
	s_nop 0
	s_sendmsg sendmsg(MSG_DEALLOC_VGPRS)
	s_endpgm
	.section	.rodata,"a",@progbits
	.p2align	6, 0x0
	.amdhsa_kernel fft_rtc_back_len1728_factors_3_6_6_16_wgs_108_tpt_108_halfLds_dp_ip_CI_unitstride_sbrr_C2R_dirReg
		.amdhsa_group_segment_fixed_size 0
		.amdhsa_private_segment_fixed_size 0
		.amdhsa_kernarg_size 88
		.amdhsa_user_sgpr_count 2
		.amdhsa_user_sgpr_dispatch_ptr 0
		.amdhsa_user_sgpr_queue_ptr 0
		.amdhsa_user_sgpr_kernarg_segment_ptr 1
		.amdhsa_user_sgpr_dispatch_id 0
		.amdhsa_user_sgpr_private_segment_size 0
		.amdhsa_wavefront_size32 1
		.amdhsa_uses_dynamic_stack 0
		.amdhsa_enable_private_segment 0
		.amdhsa_system_sgpr_workgroup_id_x 1
		.amdhsa_system_sgpr_workgroup_id_y 0
		.amdhsa_system_sgpr_workgroup_id_z 0
		.amdhsa_system_sgpr_workgroup_info 0
		.amdhsa_system_vgpr_workitem_id 0
		.amdhsa_next_free_vgpr 135
		.amdhsa_next_free_sgpr 32
		.amdhsa_reserve_vcc 1
		.amdhsa_float_round_mode_32 0
		.amdhsa_float_round_mode_16_64 0
		.amdhsa_float_denorm_mode_32 3
		.amdhsa_float_denorm_mode_16_64 3
		.amdhsa_fp16_overflow 0
		.amdhsa_workgroup_processor_mode 1
		.amdhsa_memory_ordered 1
		.amdhsa_forward_progress 0
		.amdhsa_round_robin_scheduling 0
		.amdhsa_exception_fp_ieee_invalid_op 0
		.amdhsa_exception_fp_denorm_src 0
		.amdhsa_exception_fp_ieee_div_zero 0
		.amdhsa_exception_fp_ieee_overflow 0
		.amdhsa_exception_fp_ieee_underflow 0
		.amdhsa_exception_fp_ieee_inexact 0
		.amdhsa_exception_int_div_zero 0
	.end_amdhsa_kernel
	.text
.Lfunc_end0:
	.size	fft_rtc_back_len1728_factors_3_6_6_16_wgs_108_tpt_108_halfLds_dp_ip_CI_unitstride_sbrr_C2R_dirReg, .Lfunc_end0-fft_rtc_back_len1728_factors_3_6_6_16_wgs_108_tpt_108_halfLds_dp_ip_CI_unitstride_sbrr_C2R_dirReg
                                        ; -- End function
	.section	.AMDGPU.csdata,"",@progbits
; Kernel info:
; codeLenInByte = 11856
; NumSgprs: 34
; NumVgprs: 135
; ScratchSize: 0
; MemoryBound: 0
; FloatMode: 240
; IeeeMode: 1
; LDSByteSize: 0 bytes/workgroup (compile time only)
; SGPRBlocks: 4
; VGPRBlocks: 16
; NumSGPRsForWavesPerEU: 34
; NumVGPRsForWavesPerEU: 135
; Occupancy: 10
; WaveLimiterHint : 1
; COMPUTE_PGM_RSRC2:SCRATCH_EN: 0
; COMPUTE_PGM_RSRC2:USER_SGPR: 2
; COMPUTE_PGM_RSRC2:TRAP_HANDLER: 0
; COMPUTE_PGM_RSRC2:TGID_X_EN: 1
; COMPUTE_PGM_RSRC2:TGID_Y_EN: 0
; COMPUTE_PGM_RSRC2:TGID_Z_EN: 0
; COMPUTE_PGM_RSRC2:TIDIG_COMP_CNT: 0
	.text
	.p2alignl 7, 3214868480
	.fill 96, 4, 3214868480
	.type	__hip_cuid_1595813892505d55,@object ; @__hip_cuid_1595813892505d55
	.section	.bss,"aw",@nobits
	.globl	__hip_cuid_1595813892505d55
__hip_cuid_1595813892505d55:
	.byte	0                               ; 0x0
	.size	__hip_cuid_1595813892505d55, 1

	.ident	"AMD clang version 19.0.0git (https://github.com/RadeonOpenCompute/llvm-project roc-6.4.0 25133 c7fe45cf4b819c5991fe208aaa96edf142730f1d)"
	.section	".note.GNU-stack","",@progbits
	.addrsig
	.addrsig_sym __hip_cuid_1595813892505d55
	.amdgpu_metadata
---
amdhsa.kernels:
  - .args:
      - .actual_access:  read_only
        .address_space:  global
        .offset:         0
        .size:           8
        .value_kind:     global_buffer
      - .offset:         8
        .size:           8
        .value_kind:     by_value
      - .actual_access:  read_only
        .address_space:  global
        .offset:         16
        .size:           8
        .value_kind:     global_buffer
      - .actual_access:  read_only
        .address_space:  global
        .offset:         24
        .size:           8
        .value_kind:     global_buffer
      - .offset:         32
        .size:           8
        .value_kind:     by_value
      - .actual_access:  read_only
        .address_space:  global
        .offset:         40
        .size:           8
        .value_kind:     global_buffer
      - .actual_access:  read_only
        .address_space:  global
        .offset:         48
        .size:           8
        .value_kind:     global_buffer
      - .offset:         56
        .size:           4
        .value_kind:     by_value
      - .actual_access:  read_only
        .address_space:  global
        .offset:         64
        .size:           8
        .value_kind:     global_buffer
      - .actual_access:  read_only
        .address_space:  global
        .offset:         72
        .size:           8
        .value_kind:     global_buffer
      - .address_space:  global
        .offset:         80
        .size:           8
        .value_kind:     global_buffer
    .group_segment_fixed_size: 0
    .kernarg_segment_align: 8
    .kernarg_segment_size: 88
    .language:       OpenCL C
    .language_version:
      - 2
      - 0
    .max_flat_workgroup_size: 108
    .name:           fft_rtc_back_len1728_factors_3_6_6_16_wgs_108_tpt_108_halfLds_dp_ip_CI_unitstride_sbrr_C2R_dirReg
    .private_segment_fixed_size: 0
    .sgpr_count:     34
    .sgpr_spill_count: 0
    .symbol:         fft_rtc_back_len1728_factors_3_6_6_16_wgs_108_tpt_108_halfLds_dp_ip_CI_unitstride_sbrr_C2R_dirReg.kd
    .uniform_work_group_size: 1
    .uses_dynamic_stack: false
    .vgpr_count:     135
    .vgpr_spill_count: 0
    .wavefront_size: 32
    .workgroup_processor_mode: 1
amdhsa.target:   amdgcn-amd-amdhsa--gfx1201
amdhsa.version:
  - 1
  - 2
...

	.end_amdgpu_metadata
